;; amdgpu-corpus repo=ROCm/rocFFT kind=compiled arch=gfx906 opt=O3
	.text
	.amdgcn_target "amdgcn-amd-amdhsa--gfx906"
	.amdhsa_code_object_version 6
	.protected	bluestein_single_fwd_len1331_dim1_dp_op_CI_CI ; -- Begin function bluestein_single_fwd_len1331_dim1_dp_op_CI_CI
	.globl	bluestein_single_fwd_len1331_dim1_dp_op_CI_CI
	.p2align	8
	.type	bluestein_single_fwd_len1331_dim1_dp_op_CI_CI,@function
bluestein_single_fwd_len1331_dim1_dp_op_CI_CI: ; @bluestein_single_fwd_len1331_dim1_dp_op_CI_CI
; %bb.0:
	s_load_dwordx4 s[16:19], s[4:5], 0x28
	v_mul_u32_u24_e32 v1, 0x21e, v0
	v_lshrrev_b32_e32 v44, 16, v1
	v_lshl_add_u32 v124, s6, 1, v44
	v_mov_b32_e32 v125, 0
	s_waitcnt lgkmcnt(0)
	v_cmp_gt_u64_e32 vcc, s[16:17], v[124:125]
	s_and_saveexec_b64 s[0:1], vcc
	s_cbranch_execz .LBB0_2
; %bb.1:
	s_load_dwordx4 s[0:3], s[4:5], 0x18
	s_load_dwordx4 s[8:11], s[4:5], 0x0
	v_mul_lo_u16_e32 v1, 0x79, v44
	v_sub_u16_e32 v125, v0, v1
	v_lshlrev_b32_e32 v101, 4, v125
	s_waitcnt lgkmcnt(0)
	s_load_dwordx4 s[12:15], s[0:1], 0x0
	s_movk_i32 s6, 0x1000
	v_and_b32_e32 v102, 1, v44
	s_mov_b32 s16, 0xf8bb580b
	s_mov_b32 s17, 0xbfe14ced
	s_waitcnt lgkmcnt(0)
	v_mad_u64_u32 v[0:1], s[0:1], s14, v124, 0
	v_mad_u64_u32 v[2:3], s[0:1], s12, v125, 0
	s_mov_b32 s20, 0xbb3a28a1
	s_mov_b32 s24, 0xfd768dbf
	v_mad_u64_u32 v[4:5], s[0:1], s15, v124, v[1:2]
	s_mov_b32 s21, 0xbfe82f19
	s_mov_b32 s25, 0xbfd207e7
	v_mad_u64_u32 v[5:6], s[0:1], s13, v125, v[3:4]
	v_mov_b32_e32 v1, v4
	v_lshlrev_b64 v[0:1], 4, v[0:1]
	v_mov_b32_e32 v6, s19
	v_mov_b32_e32 v3, v5
	v_add_co_u32_e32 v4, vcc, s18, v0
	v_addc_co_u32_e32 v5, vcc, v6, v1, vcc
	v_lshlrev_b64 v[0:1], 4, v[2:3]
	v_mov_b32_e32 v2, s9
	v_add_co_u32_e32 v0, vcc, v4, v0
	v_addc_co_u32_e32 v1, vcc, v5, v1, vcc
	v_add_co_u32_e32 v127, vcc, s8, v101
	s_mul_i32 s0, s13, 0x790
	s_mul_hi_u32 s1, s12, 0x790
	v_addc_co_u32_e32 v128, vcc, 0, v2, vcc
	s_add_i32 s0, s1, s0
	s_mul_i32 s1, s12, 0x790
	v_mov_b32_e32 v2, s0
	v_add_co_u32_e32 v4, vcc, s1, v0
	global_load_dwordx4 v[45:48], v[0:1], off
	v_addc_co_u32_e32 v5, vcc, v1, v2, vcc
	global_load_dwordx4 v[40:43], v101, s[8:9]
	global_load_dwordx4 v[20:23], v101, s[8:9] offset:1936
	v_mov_b32_e32 v0, s0
	v_add_co_u32_e32 v6, vcc, s1, v4
	v_addc_co_u32_e32 v7, vcc, v5, v0, vcc
	global_load_dwordx4 v[49:52], v[4:5], off
	global_load_dwordx4 v[53:56], v[6:7], off
	global_load_dwordx4 v[0:3], v101, s[8:9] offset:3872
	v_mov_b32_e32 v5, s0
	v_add_co_u32_e32 v4, vcc, s1, v6
	v_addc_co_u32_e32 v5, vcc, v7, v5, vcc
	v_add_co_u32_e32 v8, vcc, s6, v127
	v_addc_co_u32_e32 v9, vcc, 0, v128, vcc
	v_mov_b32_e32 v6, s0
	v_add_co_u32_e32 v10, vcc, s1, v4
	v_addc_co_u32_e32 v11, vcc, v5, v6, vcc
	global_load_dwordx4 v[57:60], v[4:5], off
	global_load_dwordx4 v[61:64], v[10:11], off
	global_load_dwordx4 v[28:31], v[8:9], off offset:1712
	s_nop 0
	global_load_dwordx4 v[4:7], v[8:9], off offset:3648
	v_mov_b32_e32 v9, s0
	v_add_co_u32_e32 v8, vcc, s1, v10
	v_addc_co_u32_e32 v9, vcc, v11, v9, vcc
	s_movk_i32 s6, 0x2000
	v_add_co_u32_e32 v12, vcc, s6, v127
	v_addc_co_u32_e32 v13, vcc, 0, v128, vcc
	v_mov_b32_e32 v10, s0
	v_add_co_u32_e32 v14, vcc, s1, v8
	v_addc_co_u32_e32 v15, vcc, v9, v10, vcc
	global_load_dwordx4 v[65:68], v[8:9], off
	global_load_dwordx4 v[69:72], v[14:15], off
	global_load_dwordx4 v[32:35], v[12:13], off offset:1488
	s_nop 0
	global_load_dwordx4 v[8:11], v[12:13], off offset:3424
	v_mov_b32_e32 v13, s0
	v_add_co_u32_e32 v12, vcc, s1, v14
	v_addc_co_u32_e32 v13, vcc, v15, v13, vcc
	s_movk_i32 s6, 0x3000
	;; [unrolled: 14-line block ×3, first 2 shown]
	v_add_co_u32_e32 v81, vcc, s6, v127
	v_addc_co_u32_e32 v82, vcc, 0, v128, vcc
	global_load_dwordx4 v[85:88], v[16:17], off
	v_mov_b32_e32 v18, s0
	v_add_co_u32_e32 v83, vcc, s1, v16
	v_addc_co_u32_e32 v84, vcc, v17, v18, vcc
	global_load_dwordx4 v[16:19], v[81:82], off offset:1040
	global_load_dwordx4 v[89:92], v[83:84], off
	global_load_dwordx4 v[24:27], v[81:82], off offset:2976
	v_cmp_eq_u32_e32 vcc, 1, v102
	s_load_dwordx4 s[0:3], s[2:3], 0x0
	s_mov_b32 s6, 0x8eee2c13
	s_mov_b32 s7, 0xbfed1bb4
	;; [unrolled: 1-line block ×3, first 2 shown]
	s_waitcnt vmcnt(20)
	v_mul_f64 v[81:82], v[47:48], v[42:43]
	v_mul_f64 v[83:84], v[45:46], v[42:43]
	s_mov_b32 s8, 0xd9c712b6
	s_mov_b32 s19, 0x3feaeb8c
	;; [unrolled: 1-line block ×3, first 2 shown]
	s_waitcnt vmcnt(18)
	v_mul_f64 v[93:94], v[51:52], v[22:23]
	v_mul_f64 v[95:96], v[49:50], v[22:23]
	s_waitcnt vmcnt(16)
	v_mul_f64 v[97:98], v[55:56], v[2:3]
	v_mul_f64 v[99:100], v[53:54], v[2:3]
	v_fma_f64 v[44:45], v[45:46], v[40:41], v[81:82]
	v_fma_f64 v[46:47], v[47:48], v[40:41], -v[83:84]
	s_mov_b32 s12, 0x43842ef
	s_mov_b32 s13, 0xbfefac9e
	v_fma_f64 v[48:49], v[49:50], v[20:21], v[93:94]
	v_fma_f64 v[50:51], v[51:52], v[20:21], -v[95:96]
	v_fma_f64 v[52:53], v[53:54], v[0:1], v[97:98]
	v_fma_f64 v[54:55], v[55:56], v[0:1], -v[99:100]
	v_mov_b32_e32 v56, 0x5330
	v_cndmask_b32_e32 v84, 0, v56, vcc
	v_add_u32_e32 v126, v84, v101
	ds_write_b128 v126, v[44:47]
	ds_write_b128 v126, v[48:51] offset:1936
	ds_write_b128 v126, v[52:55] offset:3872
	s_waitcnt vmcnt(13)
	v_mul_f64 v[46:47], v[57:58], v[30:31]
	s_waitcnt vmcnt(12)
	v_mul_f64 v[48:49], v[63:64], v[6:7]
	v_mul_f64 v[50:51], v[61:62], v[6:7]
	;; [unrolled: 1-line block ×3, first 2 shown]
	s_mov_b32 s14, 0x640f44db
	s_mov_b32 s22, 0x7f775887
	;; [unrolled: 1-line block ×4, first 2 shown]
	v_fma_f64 v[46:47], v[59:60], v[28:29], -v[46:47]
	v_fma_f64 v[48:49], v[61:62], v[4:5], v[48:49]
	v_fma_f64 v[50:51], v[63:64], v[4:5], -v[50:51]
	v_fma_f64 v[44:45], v[57:58], v[28:29], v[44:45]
	s_mov_b32 s23, 0xbfe4f49e
	s_mov_b32 s29, 0xbfeeb42a
	;; [unrolled: 1-line block ×4, first 2 shown]
	s_waitcnt vmcnt(9)
	v_mul_f64 v[52:53], v[67:68], v[34:35]
	v_mul_f64 v[54:55], v[65:66], v[34:35]
	s_waitcnt vmcnt(8)
	v_mul_f64 v[81:82], v[71:72], v[10:11]
	v_mul_f64 v[93:94], v[69:70], v[10:11]
	s_mov_b32 s27, 0x3fefac9e
	s_mov_b32 s26, s12
	;; [unrolled: 1-line block ×4, first 2 shown]
	v_fma_f64 v[52:53], v[65:66], v[32:33], v[52:53]
	v_fma_f64 v[54:55], v[67:68], v[32:33], -v[54:55]
	v_fma_f64 v[56:57], v[69:70], v[8:9], v[81:82]
	v_fma_f64 v[58:59], v[71:72], v[8:9], -v[93:94]
	s_mov_b32 s31, 0x3fed1bb4
	s_mov_b32 s30, s6
	s_movk_i32 s33, 0x75
	s_load_dwordx2 s[4:5], s[4:5], 0x38
	s_waitcnt vmcnt(5)
	v_mul_f64 v[60:61], v[75:76], v[38:39]
	v_mul_f64 v[62:63], v[73:74], v[38:39]
	s_waitcnt vmcnt(4)
	v_mul_f64 v[64:65], v[79:80], v[14:15]
	v_mul_f64 v[66:67], v[77:78], v[14:15]
	v_fma_f64 v[60:61], v[73:74], v[36:37], v[60:61]
	v_fma_f64 v[62:63], v[75:76], v[36:37], -v[62:63]
	v_fma_f64 v[64:65], v[77:78], v[12:13], v[64:65]
	v_fma_f64 v[66:67], v[79:80], v[12:13], -v[66:67]
	s_waitcnt vmcnt(2)
	v_mul_f64 v[68:69], v[87:88], v[18:19]
	v_mul_f64 v[70:71], v[85:86], v[18:19]
	s_waitcnt vmcnt(0)
	v_mul_f64 v[81:82], v[91:92], v[26:27]
	v_mul_f64 v[93:94], v[89:90], v[26:27]
	v_fma_f64 v[68:69], v[85:86], v[16:17], v[68:69]
	v_fma_f64 v[70:71], v[87:88], v[16:17], -v[70:71]
	v_fma_f64 v[72:73], v[89:90], v[24:25], v[81:82]
	v_fma_f64 v[74:75], v[91:92], v[24:25], -v[93:94]
	ds_write_b128 v126, v[44:47] offset:5808
	ds_write_b128 v126, v[48:51] offset:7744
	;; [unrolled: 1-line block ×8, first 2 shown]
	s_waitcnt lgkmcnt(0)
	s_barrier
	ds_read_b128 v[48:51], v126
	ds_read_b128 v[44:47], v126 offset:1936
	ds_read_b128 v[52:55], v126 offset:3872
	;; [unrolled: 1-line block ×3, first 2 shown]
	s_waitcnt lgkmcnt(2)
	v_add_f64 v[60:61], v[48:49], v[44:45]
	v_add_f64 v[62:63], v[50:51], v[46:47]
	s_waitcnt lgkmcnt(1)
	v_add_f64 v[60:61], v[60:61], v[52:53]
	v_add_f64 v[62:63], v[62:63], v[54:55]
	;; [unrolled: 3-line block ×3, first 2 shown]
	ds_read_b128 v[60:63], v126 offset:7744
	ds_read_b128 v[64:67], v126 offset:9680
	s_waitcnt lgkmcnt(1)
	v_add_f64 v[68:69], v[68:69], v[60:61]
	v_add_f64 v[70:71], v[70:71], v[62:63]
	s_waitcnt lgkmcnt(0)
	v_add_f64 v[76:77], v[68:69], v[64:65]
	v_add_f64 v[78:79], v[70:71], v[66:67]
	ds_read_b128 v[68:71], v126 offset:11616
	ds_read_b128 v[72:75], v126 offset:13552
	s_waitcnt lgkmcnt(1)
	v_add_f64 v[76:77], v[76:77], v[68:69]
	v_add_f64 v[78:79], v[78:79], v[70:71]
	s_waitcnt lgkmcnt(0)
	v_add_f64 v[89:90], v[76:77], v[72:73]
	v_add_f64 v[91:92], v[78:79], v[74:75]
	ds_read_b128 v[76:79], v126 offset:15488
	ds_read_b128 v[80:83], v126 offset:17424
	;; [unrolled: 1-line block ×3, first 2 shown]
	s_waitcnt lgkmcnt(0)
	s_barrier
	v_add_f64 v[131:132], v[54:55], -v[82:83]
	v_add_f64 v[93:94], v[46:47], -v[87:88]
	;; [unrolled: 1-line block ×3, first 2 shown]
	v_add_f64 v[89:90], v[89:90], v[76:77]
	v_add_f64 v[91:92], v[91:92], v[78:79]
	;; [unrolled: 1-line block ×4, first 2 shown]
	v_add_f64 v[133:134], v[52:53], -v[80:81]
	v_add_f64 v[52:53], v[52:53], v[80:81]
	v_mul_f64 v[44:45], v[93:94], s[16:17]
	v_mul_f64 v[46:47], v[95:96], s[16:17]
	;; [unrolled: 1-line block ×4, first 2 shown]
	v_add_f64 v[89:90], v[89:90], v[80:81]
	v_add_f64 v[91:92], v[91:92], v[82:83]
	;; [unrolled: 1-line block ×3, first 2 shown]
	v_mul_f64 v[80:81], v[131:132], s[6:7]
	v_fma_f64 v[105:106], v[97:98], s[18:19], -v[44:45]
	v_fma_f64 v[107:108], v[99:100], s[18:19], v[46:47]
	v_fma_f64 v[109:110], v[97:98], s[18:19], v[44:45]
	v_fma_f64 v[111:112], v[99:100], s[18:19], -v[46:47]
	v_fma_f64 v[113:114], v[97:98], s[8:9], -v[101:102]
	v_fma_f64 v[115:116], v[99:100], s[8:9], v[103:104]
	v_add_f64 v[44:45], v[89:90], v[85:86]
	v_add_f64 v[46:47], v[91:92], v[87:88]
	;; [unrolled: 1-line block ×8, first 2 shown]
	v_mul_f64 v[109:110], v[93:94], s[12:13]
	v_mul_f64 v[111:112], v[95:96], s[12:13]
	;; [unrolled: 1-line block ×7, first 2 shown]
	v_fma_f64 v[101:102], v[97:98], s[8:9], v[101:102]
	v_fma_f64 v[103:104], v[99:100], s[8:9], -v[103:104]
	v_fma_f64 v[117:118], v[97:98], s[14:15], -v[109:110]
	v_fma_f64 v[119:120], v[99:100], s[14:15], v[111:112]
	v_fma_f64 v[109:110], v[97:98], s[14:15], v[109:110]
	v_fma_f64 v[111:112], v[99:100], s[14:15], -v[111:112]
	v_fma_f64 v[121:122], v[97:98], s[22:23], -v[113:114]
	v_fma_f64 v[129:130], v[99:100], s[22:23], v[115:116]
	;; [unrolled: 4-line block ×3, first 2 shown]
	v_mul_f64 v[139:140], v[131:132], s[20:21]
	v_mul_f64 v[141:142], v[133:134], s[20:21]
	v_fma_f64 v[93:94], v[97:98], s[28:29], v[93:94]
	v_fma_f64 v[95:96], v[99:100], s[28:29], -v[95:96]
	v_fma_f64 v[97:98], v[52:53], s[8:9], -v[80:81]
	v_fma_f64 v[99:100], v[54:55], s[8:9], v[82:83]
	v_add_f64 v[101:102], v[48:49], v[101:102]
	v_add_f64 v[103:104], v[50:51], v[103:104]
	;; [unrolled: 1-line block ×12, first 2 shown]
	v_fma_f64 v[80:81], v[52:53], s[8:9], v[80:81]
	v_fma_f64 v[82:83], v[54:55], s[8:9], -v[82:83]
	v_fma_f64 v[143:144], v[52:53], s[22:23], -v[139:140]
	v_fma_f64 v[145:146], v[54:55], s[22:23], v[141:142]
	v_add_f64 v[48:49], v[48:49], v[93:94]
	v_add_f64 v[50:51], v[50:51], v[95:96]
	;; [unrolled: 1-line block ×4, first 2 shown]
	v_mul_f64 v[93:94], v[131:132], s[36:37]
	v_mul_f64 v[95:96], v[133:134], s[36:37]
	;; [unrolled: 1-line block ×4, first 2 shown]
	v_add_f64 v[80:81], v[80:81], v[89:90]
	v_add_f64 v[82:83], v[82:83], v[91:92]
	;; [unrolled: 1-line block ×4, first 2 shown]
	v_fma_f64 v[105:106], v[52:53], s[22:23], v[139:140]
	v_fma_f64 v[107:108], v[54:55], s[22:23], -v[141:142]
	v_fma_f64 v[139:140], v[52:53], s[28:29], -v[93:94]
	v_fma_f64 v[141:142], v[54:55], s[28:29], v[95:96]
	v_fma_f64 v[93:94], v[52:53], s[28:29], v[93:94]
	v_fma_f64 v[95:96], v[54:55], s[28:29], -v[95:96]
	v_fma_f64 v[143:144], v[52:53], s[14:15], -v[97:98]
	v_fma_f64 v[145:146], v[54:55], s[14:15], v[99:100]
	v_add_f64 v[101:102], v[105:106], v[101:102]
	v_add_f64 v[103:104], v[107:108], v[103:104]
	;; [unrolled: 1-line block ×8, first 2 shown]
	v_add_f64 v[117:118], v[58:59], -v[78:79]
	v_add_f64 v[119:120], v[56:57], -v[76:77]
	v_mul_f64 v[121:122], v[131:132], s[34:35]
	v_mul_f64 v[129:130], v[133:134], s[34:35]
	v_fma_f64 v[97:98], v[52:53], s[14:15], v[97:98]
	v_fma_f64 v[99:100], v[54:55], s[14:15], -v[99:100]
	v_add_f64 v[56:57], v[56:57], v[76:77]
	v_add_f64 v[58:59], v[58:59], v[78:79]
	v_mul_f64 v[76:77], v[117:118], s[12:13]
	v_mul_f64 v[78:79], v[119:120], s[12:13]
	v_fma_f64 v[131:132], v[52:53], s[18:19], -v[121:122]
	v_fma_f64 v[133:134], v[54:55], s[18:19], v[129:130]
	v_add_f64 v[97:98], v[97:98], v[113:114]
	v_add_f64 v[99:100], v[99:100], v[115:116]
	v_fma_f64 v[52:53], v[52:53], s[18:19], v[121:122]
	v_fma_f64 v[54:55], v[54:55], s[18:19], -v[129:130]
	v_fma_f64 v[113:114], v[56:57], s[14:15], -v[76:77]
	v_fma_f64 v[115:116], v[58:59], s[14:15], v[78:79]
	v_add_f64 v[121:122], v[131:132], v[135:136]
	v_add_f64 v[129:130], v[133:134], v[137:138]
	v_mul_f64 v[131:132], v[117:118], s[36:37]
	v_mul_f64 v[133:134], v[119:120], s[36:37]
	v_add_f64 v[48:49], v[52:53], v[48:49]
	v_add_f64 v[50:51], v[54:55], v[50:51]
	;; [unrolled: 1-line block ×4, first 2 shown]
	v_fma_f64 v[76:77], v[56:57], s[14:15], v[76:77]
	v_fma_f64 v[78:79], v[58:59], s[14:15], -v[78:79]
	v_fma_f64 v[85:86], v[56:57], s[28:29], -v[131:132]
	v_fma_f64 v[87:88], v[58:59], s[28:29], v[133:134]
	v_mul_f64 v[113:114], v[117:118], s[30:31]
	v_mul_f64 v[115:116], v[119:120], s[30:31]
	v_add_f64 v[76:77], v[76:77], v[80:81]
	v_add_f64 v[78:79], v[78:79], v[82:83]
	;; [unrolled: 1-line block ×4, first 2 shown]
	v_fma_f64 v[85:86], v[56:57], s[28:29], v[131:132]
	v_fma_f64 v[87:88], v[58:59], s[28:29], -v[133:134]
	v_mul_f64 v[131:132], v[117:118], s[16:17]
	v_mul_f64 v[133:134], v[119:120], s[16:17]
	v_fma_f64 v[89:90], v[56:57], s[8:9], -v[113:114]
	v_fma_f64 v[91:92], v[58:59], s[8:9], v[115:116]
	v_fma_f64 v[113:114], v[56:57], s[8:9], v[113:114]
	v_fma_f64 v[115:116], v[58:59], s[8:9], -v[115:116]
	v_add_f64 v[85:86], v[85:86], v[101:102]
	v_add_f64 v[87:88], v[87:88], v[103:104]
	v_fma_f64 v[101:102], v[56:57], s[18:19], -v[131:132]
	v_fma_f64 v[103:104], v[58:59], s[18:19], v[133:134]
	v_add_f64 v[89:90], v[89:90], v[105:106]
	v_add_f64 v[91:92], v[91:92], v[107:108]
	v_mul_f64 v[105:106], v[117:118], s[20:21]
	v_mul_f64 v[107:108], v[119:120], s[20:21]
	v_add_f64 v[93:94], v[113:114], v[93:94]
	v_add_f64 v[95:96], v[115:116], v[95:96]
	v_add_f64 v[101:102], v[101:102], v[109:110]
	v_add_f64 v[103:104], v[103:104], v[111:112]
	v_add_f64 v[109:110], v[62:63], -v[74:75]
	v_add_f64 v[111:112], v[60:61], -v[72:73]
	v_fma_f64 v[113:114], v[56:57], s[18:19], v[131:132]
	v_fma_f64 v[115:116], v[58:59], s[18:19], -v[133:134]
	v_fma_f64 v[117:118], v[56:57], s[22:23], -v[105:106]
	v_fma_f64 v[119:120], v[58:59], s[22:23], v[107:108]
	v_add_f64 v[60:61], v[60:61], v[72:73]
	v_add_f64 v[62:63], v[62:63], v[74:75]
	v_mul_f64 v[72:73], v[109:110], s[20:21]
	v_mul_f64 v[74:75], v[111:112], s[20:21]
	v_fma_f64 v[56:57], v[56:57], s[22:23], v[105:106]
	v_fma_f64 v[58:59], v[58:59], s[22:23], -v[107:108]
	v_mul_f64 v[105:106], v[109:110], s[26:27]
	v_mul_f64 v[107:108], v[111:112], s[26:27]
	v_add_f64 v[97:98], v[113:114], v[97:98]
	v_add_f64 v[99:100], v[115:116], v[99:100]
	;; [unrolled: 1-line block ×4, first 2 shown]
	v_fma_f64 v[117:118], v[60:61], s[22:23], -v[72:73]
	v_fma_f64 v[119:120], v[62:63], s[22:23], v[74:75]
	v_fma_f64 v[72:73], v[60:61], s[22:23], v[72:73]
	v_fma_f64 v[74:75], v[62:63], s[22:23], -v[74:75]
	v_add_f64 v[48:49], v[56:57], v[48:49]
	v_add_f64 v[50:51], v[58:59], v[50:51]
	v_fma_f64 v[56:57], v[60:61], s[14:15], -v[105:106]
	v_fma_f64 v[58:59], v[62:63], s[14:15], v[107:108]
	v_add_f64 v[52:53], v[117:118], v[52:53]
	v_add_f64 v[54:55], v[119:120], v[54:55]
	v_add_f64 v[72:73], v[72:73], v[76:77]
	v_add_f64 v[74:75], v[74:75], v[78:79]
	v_mul_f64 v[76:77], v[109:110], s[16:17]
	v_mul_f64 v[78:79], v[111:112], s[16:17]
	v_add_f64 v[56:57], v[56:57], v[80:81]
	v_add_f64 v[58:59], v[58:59], v[82:83]
	v_mul_f64 v[80:81], v[109:110], s[24:25]
	v_mul_f64 v[82:83], v[111:112], s[24:25]
	v_fma_f64 v[105:106], v[60:61], s[14:15], v[105:106]
	v_fma_f64 v[107:108], v[62:63], s[14:15], -v[107:108]
	v_fma_f64 v[117:118], v[60:61], s[18:19], -v[76:77]
	v_fma_f64 v[119:120], v[62:63], s[18:19], v[78:79]
	v_fma_f64 v[76:77], v[60:61], s[18:19], v[76:77]
	v_fma_f64 v[78:79], v[62:63], s[18:19], -v[78:79]
	v_fma_f64 v[121:122], v[60:61], s[28:29], -v[80:81]
	v_fma_f64 v[129:130], v[62:63], s[28:29], v[82:83]
	v_add_f64 v[85:86], v[105:106], v[85:86]
	v_add_f64 v[87:88], v[107:108], v[87:88]
	v_mul_f64 v[105:106], v[109:110], s[30:31]
	v_mul_f64 v[107:108], v[111:112], s[30:31]
	v_add_f64 v[76:77], v[76:77], v[93:94]
	v_add_f64 v[78:79], v[78:79], v[95:96]
	;; [unrolled: 1-line block ×4, first 2 shown]
	v_add_f64 v[101:102], v[66:67], -v[70:71]
	v_add_f64 v[103:104], v[64:65], -v[68:69]
	v_fma_f64 v[80:81], v[60:61], s[28:29], v[80:81]
	v_fma_f64 v[82:83], v[62:63], s[28:29], -v[82:83]
	v_add_f64 v[109:110], v[64:65], v[68:69]
	v_add_f64 v[111:112], v[66:67], v[70:71]
	v_fma_f64 v[68:69], v[60:61], s[8:9], -v[105:106]
	v_fma_f64 v[70:71], v[62:63], s[8:9], v[107:108]
	v_mul_f64 v[64:65], v[101:102], s[24:25]
	v_mul_f64 v[66:67], v[103:104], s[24:25]
	v_add_f64 v[80:81], v[80:81], v[97:98]
	v_add_f64 v[82:83], v[82:83], v[99:100]
	v_fma_f64 v[60:61], v[60:61], s[8:9], v[105:106]
	v_fma_f64 v[62:63], v[62:63], s[8:9], -v[107:108]
	v_add_f64 v[105:106], v[68:69], v[113:114]
	v_add_f64 v[107:108], v[70:71], v[115:116]
	v_fma_f64 v[97:98], v[109:110], s[28:29], -v[64:65]
	v_fma_f64 v[99:100], v[111:112], s[28:29], v[66:67]
	v_mul_f64 v[68:69], v[101:102], s[34:35]
	v_mul_f64 v[70:71], v[103:104], s[34:35]
	v_add_f64 v[113:114], v[60:61], v[48:49]
	v_add_f64 v[115:116], v[62:63], v[50:51]
	;; [unrolled: 1-line block ×6, first 2 shown]
	v_fma_f64 v[52:53], v[109:110], s[28:29], v[64:65]
	v_fma_f64 v[54:55], v[111:112], s[28:29], -v[66:67]
	v_mul_f64 v[64:65], v[101:102], s[20:21]
	v_mul_f64 v[66:67], v[103:104], s[20:21]
	v_fma_f64 v[60:61], v[109:110], s[18:19], -v[68:69]
	v_fma_f64 v[62:63], v[111:112], s[18:19], v[70:71]
	v_fma_f64 v[68:69], v[109:110], s[18:19], v[68:69]
	v_fma_f64 v[70:71], v[111:112], s[18:19], -v[70:71]
	v_add_f64 v[52:53], v[52:53], v[72:73]
	v_add_f64 v[54:55], v[54:55], v[74:75]
	v_fma_f64 v[72:73], v[109:110], s[22:23], -v[64:65]
	v_fma_f64 v[74:75], v[111:112], s[22:23], v[66:67]
	v_add_f64 v[56:57], v[60:61], v[56:57]
	v_add_f64 v[58:59], v[62:63], v[58:59]
	v_add_f64 v[60:61], v[68:69], v[85:86]
	v_add_f64 v[62:63], v[70:71], v[87:88]
	v_fma_f64 v[68:69], v[109:110], s[22:23], v[64:65]
	v_fma_f64 v[70:71], v[111:112], s[22:23], -v[66:67]
	v_mul_f64 v[85:86], v[101:102], s[30:31]
	v_mul_f64 v[87:88], v[103:104], s[30:31]
	v_add_f64 v[64:65], v[72:73], v[89:90]
	v_add_f64 v[66:67], v[74:75], v[91:92]
	v_mul_f64 v[72:73], v[101:102], s[12:13]
	v_mul_f64 v[74:75], v[103:104], s[12:13]
	v_add_f64 v[68:69], v[68:69], v[76:77]
	v_add_f64 v[70:71], v[70:71], v[78:79]
	v_fma_f64 v[76:77], v[109:110], s[8:9], -v[85:86]
	v_fma_f64 v[78:79], v[111:112], s[8:9], v[87:88]
	v_fma_f64 v[85:86], v[109:110], s[8:9], v[85:86]
	v_fma_f64 v[87:88], v[111:112], s[8:9], -v[87:88]
	v_fma_f64 v[89:90], v[109:110], s[14:15], -v[72:73]
	v_fma_f64 v[91:92], v[111:112], s[14:15], v[74:75]
	v_fma_f64 v[97:98], v[109:110], s[14:15], v[72:73]
	v_fma_f64 v[99:100], v[111:112], s[14:15], -v[74:75]
	v_add_f64 v[72:73], v[76:77], v[93:94]
	v_add_f64 v[74:75], v[78:79], v[95:96]
	;; [unrolled: 1-line block ×8, first 2 shown]
	v_mul_lo_u16_e32 v89, 11, v125
	v_lshl_add_u32 v129, v89, 4, v84
	ds_write_b128 v129, v[44:47]
	ds_write_b128 v129, v[48:51] offset:16
	ds_write_b128 v129, v[56:59] offset:32
	;; [unrolled: 1-line block ×10, first 2 shown]
	v_mul_lo_u16_sdwa v44, v125, s33 dst_sel:DWORD dst_unused:UNUSED_PAD src0_sel:BYTE_0 src1_sel:DWORD
	v_sub_u16_sdwa v45, v125, v44 dst_sel:DWORD dst_unused:UNUSED_PAD src0_sel:DWORD src1_sel:BYTE_1
	v_lshrrev_b16_e32 v45, 1, v45
	v_and_b32_e32 v45, 0x7f, v45
	v_add_u16_sdwa v44, v45, v44 dst_sel:DWORD dst_unused:UNUSED_PAD src0_sel:DWORD src1_sel:BYTE_1
	v_lshrrev_b16_e32 v85, 3, v44
	v_mul_lo_u16_e32 v44, 11, v85
	v_sub_u16_e32 v86, v125, v44
	v_mov_b32_e32 v44, 10
	v_mul_u32_u24_sdwa v44, v86, v44 dst_sel:DWORD dst_unused:UNUSED_PAD src0_sel:BYTE_0 src1_sel:DWORD
	v_lshlrev_b32_e32 v87, 4, v44
	s_waitcnt lgkmcnt(0)
	s_barrier
	global_load_dwordx4 v[68:71], v87, s[10:11]
	global_load_dwordx4 v[64:67], v87, s[10:11] offset:16
	global_load_dwordx4 v[48:51], v87, s[10:11] offset:32
	;; [unrolled: 1-line block ×9, first 2 shown]
	ds_read_b128 v[87:90], v126 offset:1936
	ds_read_b128 v[91:94], v126 offset:3872
	;; [unrolled: 1-line block ×3, first 2 shown]
	v_mul_u32_u24_e32 v85, 0x79, v85
	v_add_u32_sdwa v85, v85, v86 dst_sel:DWORD dst_unused:UNUSED_PAD src0_sel:DWORD src1_sel:BYTE_0
	s_movk_i32 s33, 0xa0
	s_waitcnt vmcnt(9) lgkmcnt(2)
	v_mul_f64 v[99:100], v[89:90], v[70:71]
	v_mul_f64 v[101:102], v[87:88], v[70:71]
	s_waitcnt vmcnt(8) lgkmcnt(1)
	v_mul_f64 v[103:104], v[93:94], v[66:67]
	v_mul_f64 v[105:106], v[91:92], v[66:67]
	v_fma_f64 v[111:112], v[87:88], v[68:69], -v[99:100]
	v_fma_f64 v[113:114], v[89:90], v[68:69], v[101:102]
	ds_read_b128 v[87:90], v126
	v_fma_f64 v[115:116], v[91:92], v[64:65], -v[103:104]
	v_fma_f64 v[117:118], v[93:94], v[64:65], v[105:106]
	s_waitcnt vmcnt(7) lgkmcnt(1)
	v_mul_f64 v[103:104], v[97:98], v[50:51]
	v_mul_f64 v[105:106], v[95:96], v[50:51]
	ds_read_b128 v[91:94], v126 offset:7744
	ds_read_b128 v[99:102], v126 offset:9680
	s_waitcnt lgkmcnt(2)
	v_add_f64 v[107:108], v[87:88], v[111:112]
	v_add_f64 v[109:110], v[89:90], v[113:114]
	s_waitcnt vmcnt(6) lgkmcnt(1)
	v_mul_f64 v[119:120], v[93:94], v[46:47]
	v_fma_f64 v[121:122], v[95:96], v[48:49], -v[103:104]
	v_fma_f64 v[130:131], v[97:98], v[48:49], v[105:106]
	v_mul_f64 v[95:96], v[91:92], v[46:47]
	s_waitcnt vmcnt(5) lgkmcnt(0)
	v_mul_f64 v[105:106], v[101:102], v[74:75]
	v_add_f64 v[97:98], v[107:108], v[115:116]
	v_add_f64 v[103:104], v[109:110], v[117:118]
	v_mul_f64 v[107:108], v[99:100], v[74:75]
	v_fma_f64 v[119:120], v[91:92], v[44:45], -v[119:120]
	v_fma_f64 v[132:133], v[93:94], v[44:45], v[95:96]
	v_fma_f64 v[134:135], v[99:100], v[72:73], -v[105:106]
	v_add_f64 v[109:110], v[97:98], v[121:122]
	v_add_f64 v[103:104], v[103:104], v[130:131]
	ds_read_b128 v[91:94], v126 offset:11616
	ds_read_b128 v[95:98], v126 offset:13552
	v_fma_f64 v[136:137], v[101:102], v[72:73], v[107:108]
	s_waitcnt vmcnt(4) lgkmcnt(1)
	v_mul_f64 v[138:139], v[93:94], v[62:63]
	v_mul_f64 v[140:141], v[91:92], v[62:63]
	v_add_f64 v[142:143], v[109:110], v[119:120]
	v_add_f64 v[144:145], v[103:104], v[132:133]
	s_waitcnt vmcnt(3) lgkmcnt(0)
	v_mul_f64 v[146:147], v[97:98], v[58:59]
	v_mul_f64 v[148:149], v[95:96], v[58:59]
	ds_read_b128 v[99:102], v126 offset:15488
	ds_read_b128 v[103:106], v126 offset:17424
	;; [unrolled: 1-line block ×3, first 2 shown]
	s_waitcnt lgkmcnt(0)
	v_fma_f64 v[138:139], v[91:92], v[60:61], -v[138:139]
	v_fma_f64 v[140:141], v[93:94], v[60:61], v[140:141]
	v_add_f64 v[91:92], v[142:143], v[134:135]
	v_add_f64 v[93:94], v[144:145], v[136:137]
	s_waitcnt vmcnt(2)
	v_mul_f64 v[142:143], v[101:102], v[54:55]
	v_mul_f64 v[144:145], v[99:100], v[54:55]
	v_fma_f64 v[95:96], v[95:96], v[56:57], -v[146:147]
	v_fma_f64 v[97:98], v[97:98], v[56:57], v[148:149]
	s_waitcnt vmcnt(1)
	v_mul_f64 v[146:147], v[107:108], v[78:79]
	v_mul_f64 v[148:149], v[109:110], v[78:79]
	v_add_f64 v[91:92], v[91:92], v[138:139]
	v_add_f64 v[93:94], v[93:94], v[140:141]
	v_fma_f64 v[99:100], v[99:100], v[52:53], -v[142:143]
	v_fma_f64 v[101:102], v[101:102], v[52:53], v[144:145]
	s_waitcnt vmcnt(0)
	v_mul_f64 v[142:143], v[105:106], v[82:83]
	v_mul_f64 v[144:145], v[103:104], v[82:83]
	v_fma_f64 v[109:110], v[109:110], v[76:77], v[146:147]
	v_fma_f64 v[107:108], v[107:108], v[76:77], -v[148:149]
	v_add_f64 v[91:92], v[91:92], v[95:96]
	v_add_f64 v[93:94], v[93:94], v[97:98]
	s_barrier
	v_fma_f64 v[103:104], v[103:104], v[80:81], -v[142:143]
	v_fma_f64 v[105:106], v[105:106], v[80:81], v[144:145]
	v_add_f64 v[142:143], v[113:114], -v[109:110]
	v_add_f64 v[144:145], v[111:112], -v[107:108]
	v_add_f64 v[91:92], v[91:92], v[99:100]
	v_add_f64 v[93:94], v[93:94], v[101:102]
	;; [unrolled: 1-line block ×4, first 2 shown]
	v_add_f64 v[176:177], v[115:116], -v[103:104]
	v_add_f64 v[174:175], v[117:118], -v[105:106]
	v_mul_f64 v[146:147], v[142:143], s[16:17]
	v_mul_f64 v[148:149], v[144:145], s[16:17]
	;; [unrolled: 1-line block ×10, first 2 shown]
	v_add_f64 v[91:92], v[91:92], v[103:104]
	v_add_f64 v[93:94], v[93:94], v[105:106]
	v_fma_f64 v[154:155], v[111:112], s[18:19], -v[146:147]
	v_fma_f64 v[156:157], v[113:114], s[18:19], v[148:149]
	v_fma_f64 v[162:163], v[111:112], s[14:15], -v[158:159]
	v_fma_f64 v[164:165], v[113:114], s[14:15], v[160:161]
	;; [unrolled: 2-line block ×3, first 2 shown]
	v_add_f64 v[91:92], v[91:92], v[107:108]
	v_add_f64 v[93:94], v[93:94], v[109:110]
	v_fma_f64 v[107:108], v[111:112], s[18:19], v[146:147]
	v_fma_f64 v[109:110], v[113:114], s[18:19], -v[148:149]
	v_fma_f64 v[146:147], v[111:112], s[8:9], -v[150:151]
	v_fma_f64 v[148:149], v[113:114], s[8:9], v[152:153]
	v_fma_f64 v[150:151], v[111:112], s[8:9], v[150:151]
	v_fma_f64 v[152:153], v[113:114], s[8:9], -v[152:153]
	v_fma_f64 v[158:159], v[111:112], s[14:15], v[158:159]
	v_fma_f64 v[160:161], v[113:114], s[14:15], -v[160:161]
	v_fma_f64 v[170:171], v[111:112], s[22:23], -v[166:167]
	v_fma_f64 v[172:173], v[113:114], s[22:23], v[168:169]
	v_fma_f64 v[166:167], v[111:112], s[22:23], v[166:167]
	v_fma_f64 v[168:169], v[113:114], s[22:23], -v[168:169]
	v_add_f64 v[103:104], v[115:116], v[103:104]
	v_add_f64 v[105:106], v[117:118], v[105:106]
	v_mul_f64 v[115:116], v[174:175], s[6:7]
	v_mul_f64 v[117:118], v[176:177], s[6:7]
	v_fma_f64 v[111:112], v[111:112], s[28:29], v[142:143]
	v_fma_f64 v[113:114], v[113:114], s[28:29], -v[144:145]
	v_add_f64 v[142:143], v[87:88], v[178:179]
	v_add_f64 v[144:145], v[89:90], v[180:181]
	v_mul_f64 v[178:179], v[174:175], s[20:21]
	v_mul_f64 v[180:181], v[176:177], s[20:21]
	v_add_f64 v[154:155], v[87:88], v[154:155]
	v_add_f64 v[156:157], v[89:90], v[156:157]
	v_add_f64 v[107:108], v[87:88], v[107:108]
	v_add_f64 v[109:110], v[89:90], v[109:110]
	v_add_f64 v[146:147], v[87:88], v[146:147]
	v_add_f64 v[148:149], v[89:90], v[148:149]
	v_add_f64 v[150:151], v[87:88], v[150:151]
	v_add_f64 v[152:153], v[89:90], v[152:153]
	v_add_f64 v[162:163], v[87:88], v[162:163]
	v_add_f64 v[164:165], v[89:90], v[164:165]
	v_add_f64 v[158:159], v[87:88], v[158:159]
	v_add_f64 v[160:161], v[89:90], v[160:161]
	v_add_f64 v[170:171], v[87:88], v[170:171]
	v_add_f64 v[172:173], v[89:90], v[172:173]
	v_add_f64 v[166:167], v[87:88], v[166:167]
	v_add_f64 v[168:169], v[89:90], v[168:169]
	v_fma_f64 v[182:183], v[103:104], s[8:9], -v[115:116]
	v_fma_f64 v[184:185], v[105:106], s[8:9], v[117:118]
	v_add_f64 v[87:88], v[87:88], v[111:112]
	v_add_f64 v[89:90], v[89:90], v[113:114]
	v_fma_f64 v[111:112], v[103:104], s[8:9], v[115:116]
	v_fma_f64 v[113:114], v[105:106], s[8:9], -v[117:118]
	v_fma_f64 v[115:116], v[103:104], s[22:23], -v[178:179]
	v_fma_f64 v[117:118], v[105:106], s[22:23], v[180:181]
	v_add_f64 v[154:155], v[182:183], v[154:155]
	v_add_f64 v[156:157], v[184:185], v[156:157]
	v_mul_f64 v[182:183], v[174:175], s[36:37]
	v_mul_f64 v[184:185], v[176:177], s[36:37]
	v_add_f64 v[107:108], v[111:112], v[107:108]
	v_add_f64 v[109:110], v[113:114], v[109:110]
	;; [unrolled: 1-line block ×4, first 2 shown]
	v_fma_f64 v[115:116], v[103:104], s[22:23], v[178:179]
	v_fma_f64 v[117:118], v[105:106], s[22:23], -v[180:181]
	v_mul_f64 v[178:179], v[174:175], s[26:27]
	v_mul_f64 v[180:181], v[176:177], s[26:27]
	v_fma_f64 v[146:147], v[103:104], s[28:29], -v[182:183]
	v_fma_f64 v[148:149], v[105:106], s[28:29], v[184:185]
	v_mul_f64 v[174:175], v[174:175], s[34:35]
	v_mul_f64 v[176:177], v[176:177], s[34:35]
	v_add_f64 v[115:116], v[115:116], v[150:151]
	v_add_f64 v[117:118], v[117:118], v[152:153]
	v_fma_f64 v[150:151], v[103:104], s[14:15], -v[178:179]
	v_fma_f64 v[152:153], v[105:106], s[14:15], v[180:181]
	v_add_f64 v[146:147], v[146:147], v[162:163]
	v_add_f64 v[148:149], v[148:149], v[164:165]
	v_fma_f64 v[162:163], v[103:104], s[14:15], v[178:179]
	v_fma_f64 v[164:165], v[105:106], s[14:15], -v[180:181]
	v_fma_f64 v[182:183], v[103:104], s[28:29], v[182:183]
	v_fma_f64 v[184:185], v[105:106], s[28:29], -v[184:185]
	v_add_f64 v[150:151], v[150:151], v[170:171]
	v_add_f64 v[152:153], v[152:153], v[172:173]
	v_add_f64 v[170:171], v[130:131], -v[101:102]
	v_add_f64 v[172:173], v[121:122], -v[99:100]
	v_add_f64 v[162:163], v[162:163], v[166:167]
	v_add_f64 v[164:165], v[164:165], v[168:169]
	v_fma_f64 v[166:167], v[103:104], s[18:19], -v[174:175]
	v_fma_f64 v[168:169], v[105:106], s[18:19], v[176:177]
	v_add_f64 v[99:100], v[121:122], v[99:100]
	v_add_f64 v[101:102], v[130:131], v[101:102]
	v_mul_f64 v[121:122], v[170:171], s[12:13]
	v_mul_f64 v[130:131], v[172:173], s[12:13]
	v_fma_f64 v[103:104], v[103:104], s[18:19], v[174:175]
	v_fma_f64 v[105:106], v[105:106], s[18:19], -v[176:177]
	v_add_f64 v[142:143], v[166:167], v[142:143]
	v_add_f64 v[144:145], v[168:169], v[144:145]
	v_mul_f64 v[166:167], v[170:171], s[36:37]
	v_mul_f64 v[168:169], v[172:173], s[36:37]
	v_fma_f64 v[174:175], v[99:100], s[14:15], -v[121:122]
	v_fma_f64 v[176:177], v[101:102], s[14:15], v[130:131]
	v_add_f64 v[87:88], v[103:104], v[87:88]
	v_add_f64 v[89:90], v[105:106], v[89:90]
	v_fma_f64 v[103:104], v[99:100], s[14:15], v[121:122]
	v_fma_f64 v[105:106], v[101:102], s[14:15], -v[130:131]
	v_fma_f64 v[121:122], v[99:100], s[28:29], -v[166:167]
	v_fma_f64 v[130:131], v[101:102], s[28:29], v[168:169]
	v_add_f64 v[154:155], v[174:175], v[154:155]
	v_add_f64 v[156:157], v[176:177], v[156:157]
	v_mul_f64 v[174:175], v[170:171], s[30:31]
	v_mul_f64 v[176:177], v[172:173], s[30:31]
	v_add_f64 v[103:104], v[103:104], v[107:108]
	v_add_f64 v[105:106], v[105:106], v[109:110]
	;; [unrolled: 1-line block ×4, first 2 shown]
	v_fma_f64 v[111:112], v[99:100], s[28:29], v[166:167]
	v_fma_f64 v[113:114], v[101:102], s[28:29], -v[168:169]
	v_fma_f64 v[121:122], v[99:100], s[8:9], -v[174:175]
	v_fma_f64 v[130:131], v[101:102], s[8:9], v[176:177]
	v_mul_f64 v[166:167], v[170:171], s[16:17]
	v_mul_f64 v[168:169], v[172:173], s[16:17]
	v_add_f64 v[158:159], v[182:183], v[158:159]
	v_add_f64 v[160:161], v[184:185], v[160:161]
	;; [unrolled: 1-line block ×6, first 2 shown]
	v_fma_f64 v[121:122], v[99:100], s[18:19], -v[166:167]
	v_fma_f64 v[130:131], v[101:102], s[18:19], v[168:169]
	v_fma_f64 v[174:175], v[99:100], s[8:9], v[174:175]
	v_fma_f64 v[176:177], v[101:102], s[8:9], -v[176:177]
	v_fma_f64 v[166:167], v[99:100], s[18:19], v[166:167]
	v_fma_f64 v[168:169], v[101:102], s[18:19], -v[168:169]
	v_add_f64 v[121:122], v[121:122], v[150:151]
	v_add_f64 v[130:131], v[130:131], v[152:153]
	v_add_f64 v[150:151], v[132:133], -v[97:98]
	v_add_f64 v[152:153], v[119:120], -v[95:96]
	v_add_f64 v[95:96], v[119:120], v[95:96]
	v_add_f64 v[97:98], v[132:133], v[97:98]
	;; [unrolled: 1-line block ×4, first 2 shown]
	v_mul_f64 v[158:159], v[170:171], s[20:21]
	v_mul_f64 v[160:161], v[172:173], s[20:21]
	;; [unrolled: 1-line block ×4, first 2 shown]
	v_add_f64 v[162:163], v[166:167], v[162:163]
	v_add_f64 v[164:165], v[168:169], v[164:165]
	v_fma_f64 v[170:171], v[99:100], s[22:23], -v[158:159]
	v_fma_f64 v[172:173], v[101:102], s[22:23], v[160:161]
	v_fma_f64 v[166:167], v[95:96], s[22:23], -v[119:120]
	v_fma_f64 v[168:169], v[97:98], s[22:23], v[132:133]
	v_fma_f64 v[119:120], v[95:96], s[22:23], v[119:120]
	v_fma_f64 v[132:133], v[97:98], s[22:23], -v[132:133]
	v_fma_f64 v[99:100], v[99:100], s[22:23], v[158:159]
	v_fma_f64 v[101:102], v[101:102], s[22:23], -v[160:161]
	v_mul_f64 v[158:159], v[150:151], s[26:27]
	v_mul_f64 v[160:161], v[152:153], s[26:27]
	v_add_f64 v[154:155], v[166:167], v[154:155]
	v_add_f64 v[156:157], v[168:169], v[156:157]
	;; [unrolled: 1-line block ×4, first 2 shown]
	v_mul_f64 v[119:120], v[150:151], s[16:17]
	v_mul_f64 v[132:133], v[152:153], s[16:17]
	v_add_f64 v[87:88], v[99:100], v[87:88]
	v_add_f64 v[89:90], v[101:102], v[89:90]
	v_fma_f64 v[99:100], v[95:96], s[14:15], -v[158:159]
	v_fma_f64 v[101:102], v[97:98], s[14:15], v[160:161]
	v_add_f64 v[142:143], v[170:171], v[142:143]
	v_add_f64 v[144:145], v[172:173], v[144:145]
	v_fma_f64 v[166:167], v[95:96], s[18:19], -v[119:120]
	v_fma_f64 v[168:169], v[97:98], s[18:19], v[132:133]
	v_fma_f64 v[119:120], v[95:96], s[18:19], v[119:120]
	v_fma_f64 v[132:133], v[97:98], s[18:19], -v[132:133]
	v_add_f64 v[99:100], v[99:100], v[107:108]
	v_add_f64 v[101:102], v[101:102], v[109:110]
	v_mul_f64 v[107:108], v[150:151], s[24:25]
	v_mul_f64 v[109:110], v[152:153], s[24:25]
	v_fma_f64 v[158:159], v[95:96], s[14:15], v[158:159]
	v_fma_f64 v[160:161], v[97:98], s[14:15], -v[160:161]
	v_add_f64 v[119:120], v[119:120], v[146:147]
	v_add_f64 v[132:133], v[132:133], v[148:149]
	v_add_f64 v[146:147], v[136:137], -v[140:141]
	v_add_f64 v[148:149], v[134:135], -v[138:139]
	v_fma_f64 v[170:171], v[95:96], s[28:29], -v[107:108]
	v_fma_f64 v[172:173], v[97:98], s[28:29], v[109:110]
	v_mul_f64 v[150:151], v[150:151], s[30:31]
	v_mul_f64 v[152:153], v[152:153], s[30:31]
	v_fma_f64 v[107:108], v[95:96], s[28:29], v[107:108]
	v_fma_f64 v[109:110], v[97:98], s[28:29], -v[109:110]
	v_add_f64 v[134:135], v[134:135], v[138:139]
	v_add_f64 v[136:137], v[136:137], v[140:141]
	v_mul_f64 v[138:139], v[146:147], s[24:25]
	v_mul_f64 v[140:141], v[148:149], s[24:25]
	v_add_f64 v[111:112], v[158:159], v[111:112]
	v_add_f64 v[113:114], v[160:161], v[113:114]
	v_fma_f64 v[158:159], v[95:96], s[8:9], -v[150:151]
	v_fma_f64 v[160:161], v[97:98], s[8:9], v[152:153]
	v_add_f64 v[162:163], v[107:108], v[162:163]
	v_add_f64 v[164:165], v[109:110], v[164:165]
	v_fma_f64 v[95:96], v[95:96], s[8:9], v[150:151]
	v_fma_f64 v[97:98], v[97:98], s[8:9], -v[152:153]
	v_fma_f64 v[107:108], v[134:135], s[28:29], -v[138:139]
	v_fma_f64 v[109:110], v[136:137], s[28:29], v[140:141]
	v_mul_f64 v[150:151], v[146:147], s[34:35]
	v_mul_f64 v[152:153], v[148:149], s[34:35]
	v_add_f64 v[142:143], v[158:159], v[142:143]
	v_add_f64 v[144:145], v[160:161], v[144:145]
	;; [unrolled: 1-line block ×6, first 2 shown]
	v_fma_f64 v[95:96], v[134:135], s[28:29], v[138:139]
	v_fma_f64 v[97:98], v[136:137], s[28:29], -v[140:141]
	v_fma_f64 v[107:108], v[134:135], s[18:19], -v[150:151]
	v_fma_f64 v[109:110], v[136:137], s[18:19], v[152:153]
	v_mul_f64 v[138:139], v[146:147], s[20:21]
	v_mul_f64 v[140:141], v[148:149], s[20:21]
	v_fma_f64 v[150:151], v[134:135], s[18:19], v[150:151]
	v_fma_f64 v[152:153], v[136:137], s[18:19], -v[152:153]
	v_add_f64 v[115:116], v[166:167], v[115:116]
	v_add_f64 v[117:118], v[168:169], v[117:118]
	;; [unrolled: 1-line block ×4, first 2 shown]
	v_fma_f64 v[107:108], v[134:135], s[22:23], -v[138:139]
	v_fma_f64 v[109:110], v[136:137], s[22:23], v[140:141]
	v_add_f64 v[95:96], v[95:96], v[103:104]
	v_add_f64 v[97:98], v[97:98], v[105:106]
	;; [unrolled: 1-line block ×4, first 2 shown]
	v_fma_f64 v[111:112], v[134:135], s[22:23], v[138:139]
	v_fma_f64 v[113:114], v[136:137], s[22:23], -v[140:141]
	v_mul_f64 v[138:139], v[146:147], s[30:31]
	v_mul_f64 v[140:141], v[148:149], s[30:31]
	v_add_f64 v[107:108], v[107:108], v[115:116]
	v_add_f64 v[109:110], v[109:110], v[117:118]
	v_mul_f64 v[115:116], v[146:147], s[12:13]
	v_mul_f64 v[117:118], v[148:149], s[12:13]
	v_add_f64 v[121:122], v[170:171], v[121:122]
	v_add_f64 v[130:131], v[172:173], v[130:131]
	;; [unrolled: 1-line block ×4, first 2 shown]
	v_fma_f64 v[119:120], v[134:135], s[8:9], -v[138:139]
	v_fma_f64 v[132:133], v[136:137], s[8:9], v[140:141]
	v_fma_f64 v[146:147], v[134:135], s[14:15], -v[115:116]
	v_fma_f64 v[148:149], v[136:137], s[14:15], v[117:118]
	v_fma_f64 v[138:139], v[134:135], s[8:9], v[138:139]
	;; [unrolled: 1-line block ×3, first 2 shown]
	v_fma_f64 v[152:153], v[136:137], s[14:15], -v[117:118]
	v_fma_f64 v[140:141], v[136:137], s[8:9], -v[140:141]
	v_add_f64 v[115:116], v[119:120], v[121:122]
	v_add_f64 v[117:118], v[132:133], v[130:131]
	v_add_f64 v[131:132], v[146:147], v[142:143]
	v_add_f64 v[133:134], v[148:149], v[144:145]
	v_add_f64 v[119:120], v[138:139], v[162:163]
	v_add_f64 v[135:136], v[150:151], v[158:159]
	v_add_f64 v[137:138], v[152:153], v[160:161]
	v_lshl_add_u32 v130, v85, 4, v84
	v_mov_b32_e32 v85, s11
	v_add_f64 v[121:122], v[140:141], v[164:165]
	v_mov_b32_e32 v84, s10
	ds_write_b128 v130, v[91:94]
	ds_write_b128 v130, v[87:90] offset:176
	ds_write_b128 v130, v[99:102] offset:352
	;; [unrolled: 1-line block ×10, first 2 shown]
	v_mad_u64_u32 v[120:121], s[10:11], v125, s33, v[84:85]
	s_waitcnt lgkmcnt(0)
	s_barrier
	global_load_dwordx4 v[108:111], v[120:121], off offset:1760
	global_load_dwordx4 v[104:107], v[120:121], off offset:1776
	;; [unrolled: 1-line block ×9, first 2 shown]
	s_nop 0
	global_load_dwordx4 v[120:123], v[120:121], off offset:1888
	ds_read_b128 v[131:134], v126 offset:1936
	ds_read_b128 v[135:138], v126 offset:3872
	ds_read_b128 v[139:142], v126 offset:5808
	s_movk_i32 s11, 0x5000
	s_movk_i32 s10, 0x5330
	s_waitcnt vmcnt(9) lgkmcnt(2)
	v_mul_f64 v[143:144], v[133:134], v[110:111]
	v_mul_f64 v[145:146], v[131:132], v[110:111]
	s_waitcnt vmcnt(8) lgkmcnt(1)
	v_mul_f64 v[147:148], v[137:138], v[106:107]
	v_mul_f64 v[149:150], v[135:136], v[106:107]
	v_fma_f64 v[155:156], v[131:132], v[108:109], -v[143:144]
	v_fma_f64 v[157:158], v[133:134], v[108:109], v[145:146]
	ds_read_b128 v[131:134], v126
	v_fma_f64 v[159:160], v[135:136], v[104:105], -v[147:148]
	v_fma_f64 v[161:162], v[137:138], v[104:105], v[149:150]
	s_waitcnt vmcnt(7) lgkmcnt(1)
	v_mul_f64 v[147:148], v[141:142], v[90:91]
	v_mul_f64 v[149:150], v[139:140], v[90:91]
	ds_read_b128 v[135:138], v126 offset:7744
	ds_read_b128 v[143:146], v126 offset:9680
	s_waitcnt lgkmcnt(2)
	v_add_f64 v[151:152], v[131:132], v[155:156]
	v_add_f64 v[153:154], v[133:134], v[157:158]
	s_waitcnt vmcnt(6) lgkmcnt(1)
	v_mul_f64 v[163:164], v[137:138], v[86:87]
	v_fma_f64 v[165:166], v[139:140], v[88:89], -v[147:148]
	v_fma_f64 v[167:168], v[141:142], v[88:89], v[149:150]
	v_mul_f64 v[139:140], v[135:136], v[86:87]
	s_waitcnt vmcnt(5) lgkmcnt(0)
	v_mul_f64 v[149:150], v[145:146], v[114:115]
	v_add_f64 v[141:142], v[151:152], v[159:160]
	v_add_f64 v[147:148], v[153:154], v[161:162]
	v_mul_f64 v[151:152], v[143:144], v[114:115]
	v_fma_f64 v[163:164], v[135:136], v[84:85], -v[163:164]
	v_fma_f64 v[169:170], v[137:138], v[84:85], v[139:140]
	v_fma_f64 v[171:172], v[143:144], v[112:113], -v[149:150]
	v_add_f64 v[153:154], v[141:142], v[165:166]
	v_add_f64 v[147:148], v[147:148], v[167:168]
	ds_read_b128 v[135:138], v126 offset:11616
	ds_read_b128 v[139:142], v126 offset:13552
	v_fma_f64 v[173:174], v[145:146], v[112:113], v[151:152]
	s_waitcnt vmcnt(4) lgkmcnt(1)
	v_mul_f64 v[175:176], v[137:138], v[102:103]
	s_waitcnt vmcnt(3) lgkmcnt(0)
	v_mul_f64 v[183:184], v[141:142], v[98:99]
	v_add_f64 v[179:180], v[153:154], v[163:164]
	v_add_f64 v[181:182], v[147:148], v[169:170]
	ds_read_b128 v[143:146], v126 offset:15488
	ds_read_b128 v[147:150], v126 offset:17424
	;; [unrolled: 1-line block ×3, first 2 shown]
	v_mul_f64 v[177:178], v[135:136], v[102:103]
	v_mul_f64 v[185:186], v[139:140], v[98:99]
	v_fma_f64 v[175:176], v[135:136], v[100:101], -v[175:176]
	v_fma_f64 v[139:140], v[139:140], v[96:97], -v[183:184]
	v_add_f64 v[135:136], v[179:180], v[171:172]
	s_waitcnt vmcnt(2) lgkmcnt(2)
	v_mul_f64 v[179:180], v[145:146], v[94:95]
	s_waitcnt vmcnt(1) lgkmcnt(0)
	v_mul_f64 v[183:184], v[151:152], v[118:119]
	v_fma_f64 v[177:178], v[137:138], v[100:101], v[177:178]
	v_add_f64 v[137:138], v[181:182], v[173:174]
	v_mul_f64 v[181:182], v[143:144], v[94:95]
	v_fma_f64 v[141:142], v[141:142], v[96:97], v[185:186]
	v_mul_f64 v[185:186], v[153:154], v[118:119]
	v_add_f64 v[135:136], v[135:136], v[175:176]
	v_fma_f64 v[143:144], v[143:144], v[92:93], -v[179:180]
	s_waitcnt vmcnt(0)
	v_mul_f64 v[179:180], v[149:150], v[122:123]
	v_fma_f64 v[153:154], v[153:154], v[116:117], v[183:184]
	v_add_f64 v[137:138], v[137:138], v[177:178]
	v_fma_f64 v[145:146], v[145:146], v[92:93], v[181:182]
	v_mul_f64 v[181:182], v[147:148], v[122:123]
	v_fma_f64 v[151:152], v[151:152], v[116:117], -v[185:186]
	v_add_f64 v[135:136], v[135:136], v[139:140]
	v_fma_f64 v[147:148], v[147:148], v[120:121], -v[179:180]
	v_add_f64 v[179:180], v[157:158], -v[153:154]
	v_add_f64 v[137:138], v[137:138], v[141:142]
	v_add_f64 v[157:158], v[157:158], v[153:154]
	v_fma_f64 v[149:150], v[149:150], v[120:121], v[181:182]
	v_add_f64 v[181:182], v[155:156], -v[151:152]
	v_add_f64 v[135:136], v[135:136], v[143:144]
	v_add_f64 v[155:156], v[155:156], v[151:152]
	v_add_f64 v[213:214], v[159:160], -v[147:148]
	v_mul_f64 v[183:184], v[179:180], s[16:17]
	v_mul_f64 v[187:188], v[179:180], s[6:7]
	;; [unrolled: 1-line block ×5, first 2 shown]
	v_add_f64 v[137:138], v[137:138], v[145:146]
	v_mul_f64 v[185:186], v[181:182], s[16:17]
	v_mul_f64 v[189:190], v[181:182], s[6:7]
	;; [unrolled: 1-line block ×5, first 2 shown]
	v_add_f64 v[135:136], v[135:136], v[147:148]
	v_add_f64 v[211:212], v[161:162], -v[149:150]
	v_fma_f64 v[215:216], v[155:156], s[28:29], -v[179:180]
	v_add_f64 v[137:138], v[137:138], v[149:150]
	v_fma_f64 v[191:192], v[155:156], s[18:19], -v[183:184]
	v_fma_f64 v[199:200], v[155:156], s[14:15], -v[195:196]
	v_fma_f64 v[195:196], v[155:156], s[14:15], v[195:196]
	v_fma_f64 v[217:218], v[157:158], s[28:29], v[181:182]
	v_add_f64 v[135:136], v[135:136], v[151:152]
	v_fma_f64 v[151:152], v[155:156], s[18:19], v[183:184]
	v_fma_f64 v[183:184], v[155:156], s[8:9], -v[187:188]
	v_fma_f64 v[187:188], v[155:156], s[8:9], v[187:188]
	v_fma_f64 v[207:208], v[155:156], s[22:23], -v[203:204]
	v_fma_f64 v[203:204], v[155:156], s[22:23], v[203:204]
	v_add_f64 v[147:148], v[159:160], v[147:148]
	v_mul_f64 v[159:160], v[211:212], s[6:7]
	v_fma_f64 v[155:156], v[155:156], s[28:29], v[179:180]
	v_add_f64 v[179:180], v[131:132], v[215:216]
	v_mul_f64 v[215:216], v[211:212], s[20:21]
	v_fma_f64 v[193:194], v[157:158], s[18:19], v[185:186]
	v_add_f64 v[137:138], v[137:138], v[153:154]
	v_fma_f64 v[153:154], v[157:158], s[18:19], -v[185:186]
	v_fma_f64 v[185:186], v[157:158], s[8:9], v[189:190]
	v_fma_f64 v[189:190], v[157:158], s[8:9], -v[189:190]
	v_fma_f64 v[201:202], v[157:158], s[14:15], v[197:198]
	;; [unrolled: 2-line block ×3, first 2 shown]
	v_fma_f64 v[205:206], v[157:158], s[22:23], -v[205:206]
	v_add_f64 v[149:150], v[161:162], v[149:150]
	v_mul_f64 v[161:162], v[213:214], s[6:7]
	v_fma_f64 v[157:158], v[157:158], s[28:29], -v[181:182]
	v_add_f64 v[181:182], v[133:134], v[217:218]
	v_mul_f64 v[217:218], v[213:214], s[20:21]
	v_add_f64 v[191:192], v[131:132], v[191:192]
	v_add_f64 v[151:152], v[131:132], v[151:152]
	;; [unrolled: 1-line block ×8, first 2 shown]
	v_fma_f64 v[219:220], v[147:148], s[8:9], -v[159:160]
	v_add_f64 v[131:132], v[131:132], v[155:156]
	v_fma_f64 v[155:156], v[147:148], s[8:9], v[159:160]
	v_fma_f64 v[159:160], v[147:148], s[22:23], -v[215:216]
	v_add_f64 v[193:194], v[133:134], v[193:194]
	v_add_f64 v[153:154], v[133:134], v[153:154]
	;; [unrolled: 1-line block ×8, first 2 shown]
	v_fma_f64 v[221:222], v[149:150], s[8:9], v[161:162]
	v_add_f64 v[133:134], v[133:134], v[157:158]
	v_fma_f64 v[157:158], v[149:150], s[8:9], -v[161:162]
	v_fma_f64 v[161:162], v[149:150], s[22:23], v[217:218]
	v_add_f64 v[191:192], v[219:220], v[191:192]
	v_mul_f64 v[219:220], v[211:212], s[36:37]
	v_add_f64 v[151:152], v[155:156], v[151:152]
	v_add_f64 v[155:156], v[159:160], v[183:184]
	v_fma_f64 v[159:160], v[147:148], s[22:23], v[215:216]
	v_mul_f64 v[215:216], v[211:212], s[26:27]
	v_add_f64 v[193:194], v[221:222], v[193:194]
	v_mul_f64 v[221:222], v[213:214], s[36:37]
	v_add_f64 v[153:154], v[157:158], v[153:154]
	v_add_f64 v[157:158], v[161:162], v[185:186]
	v_fma_f64 v[161:162], v[149:150], s[22:23], -v[217:218]
	v_mul_f64 v[217:218], v[213:214], s[26:27]
	v_fma_f64 v[183:184], v[147:148], s[28:29], -v[219:220]
	v_add_f64 v[159:160], v[159:160], v[187:188]
	v_fma_f64 v[187:188], v[147:148], s[14:15], -v[215:216]
	v_fma_f64 v[185:186], v[149:150], s[28:29], v[221:222]
	v_mul_f64 v[211:212], v[211:212], s[34:35]
	v_mul_f64 v[213:214], v[213:214], s[34:35]
	v_add_f64 v[161:162], v[161:162], v[189:190]
	v_fma_f64 v[189:190], v[149:150], s[14:15], v[217:218]
	v_add_f64 v[183:184], v[183:184], v[199:200]
	v_fma_f64 v[199:200], v[147:148], s[14:15], v[215:216]
	v_add_f64 v[187:188], v[187:188], v[207:208]
	v_add_f64 v[207:208], v[167:168], -v[145:146]
	v_add_f64 v[185:186], v[185:186], v[201:202]
	v_fma_f64 v[201:202], v[149:150], s[14:15], -v[217:218]
	v_add_f64 v[145:146], v[167:168], v[145:146]
	v_add_f64 v[189:190], v[189:190], v[209:210]
	v_add_f64 v[209:210], v[165:166], -v[143:144]
	v_add_f64 v[199:200], v[199:200], v[203:204]
	v_fma_f64 v[203:204], v[147:148], s[18:19], -v[211:212]
	v_add_f64 v[143:144], v[165:166], v[143:144]
	v_mul_f64 v[165:166], v[207:208], s[12:13]
	v_add_f64 v[201:202], v[201:202], v[205:206]
	v_fma_f64 v[205:206], v[149:150], s[18:19], v[213:214]
	v_fma_f64 v[219:220], v[147:148], s[28:29], v[219:220]
	v_mul_f64 v[167:168], v[209:210], s[12:13]
	v_fma_f64 v[147:148], v[147:148], s[18:19], v[211:212]
	v_add_f64 v[179:180], v[203:204], v[179:180]
	v_mul_f64 v[203:204], v[207:208], s[36:37]
	v_fma_f64 v[211:212], v[143:144], s[14:15], -v[165:166]
	v_fma_f64 v[221:222], v[149:150], s[28:29], -v[221:222]
	;; [unrolled: 1-line block ×3, first 2 shown]
	v_add_f64 v[181:182], v[205:206], v[181:182]
	v_mul_f64 v[205:206], v[209:210], s[36:37]
	v_fma_f64 v[213:214], v[145:146], s[14:15], v[167:168]
	v_add_f64 v[131:132], v[147:148], v[131:132]
	v_fma_f64 v[147:148], v[143:144], s[14:15], v[165:166]
	v_fma_f64 v[165:166], v[143:144], s[28:29], -v[203:204]
	v_add_f64 v[191:192], v[211:212], v[191:192]
	v_mul_f64 v[211:212], v[207:208], s[30:31]
	v_add_f64 v[133:134], v[149:150], v[133:134]
	v_fma_f64 v[149:150], v[145:146], s[14:15], -v[167:168]
	v_fma_f64 v[167:168], v[145:146], s[28:29], v[205:206]
	v_add_f64 v[193:194], v[213:214], v[193:194]
	v_mul_f64 v[213:214], v[209:210], s[30:31]
	v_add_f64 v[147:148], v[147:148], v[151:152]
	v_add_f64 v[151:152], v[165:166], v[155:156]
	v_fma_f64 v[155:156], v[143:144], s[28:29], v[203:204]
	v_fma_f64 v[165:166], v[143:144], s[8:9], -v[211:212]
	v_mul_f64 v[203:204], v[207:208], s[16:17]
	v_add_f64 v[149:150], v[149:150], v[153:154]
	v_add_f64 v[153:154], v[167:168], v[157:158]
	v_fma_f64 v[157:158], v[145:146], s[28:29], -v[205:206]
	v_fma_f64 v[167:168], v[145:146], s[8:9], v[213:214]
	v_mul_f64 v[205:206], v[209:210], s[16:17]
	v_add_f64 v[155:156], v[155:156], v[159:160]
	v_add_f64 v[159:160], v[165:166], v[183:184]
	v_fma_f64 v[165:166], v[143:144], s[18:19], -v[203:204]
	v_add_f64 v[195:196], v[219:220], v[195:196]
	v_fma_f64 v[211:212], v[143:144], s[8:9], v[211:212]
	v_add_f64 v[157:158], v[157:158], v[161:162]
	v_add_f64 v[161:162], v[167:168], v[185:186]
	v_fma_f64 v[167:168], v[145:146], s[18:19], v[205:206]
	v_fma_f64 v[203:204], v[143:144], s[18:19], v[203:204]
	v_add_f64 v[197:198], v[221:222], v[197:198]
	v_add_f64 v[165:166], v[165:166], v[187:188]
	v_add_f64 v[187:188], v[169:170], -v[141:142]
	v_fma_f64 v[213:214], v[145:146], s[8:9], -v[213:214]
	v_fma_f64 v[205:206], v[145:146], s[18:19], -v[205:206]
	v_add_f64 v[141:142], v[169:170], v[141:142]
	v_add_f64 v[167:168], v[167:168], v[189:190]
	v_add_f64 v[189:190], v[163:164], -v[139:140]
	v_add_f64 v[139:140], v[163:164], v[139:140]
	v_add_f64 v[183:184], v[211:212], v[195:196]
	v_mul_f64 v[163:164], v[187:188], s[20:21]
	v_mul_f64 v[195:196], v[207:208], s[20:21]
	v_add_f64 v[199:200], v[203:204], v[199:200]
	v_add_f64 v[185:186], v[213:214], v[197:198]
	v_mul_f64 v[197:198], v[209:210], s[20:21]
	v_mul_f64 v[169:170], v[189:190], s[20:21]
	v_add_f64 v[201:202], v[205:206], v[201:202]
	v_fma_f64 v[203:204], v[139:140], s[22:23], -v[163:164]
	v_fma_f64 v[163:164], v[139:140], s[22:23], v[163:164]
	v_fma_f64 v[207:208], v[143:144], s[22:23], -v[195:196]
	v_fma_f64 v[143:144], v[143:144], s[22:23], v[195:196]
	v_mul_f64 v[195:196], v[187:188], s[26:27]
	v_fma_f64 v[205:206], v[141:142], s[22:23], v[169:170]
	v_fma_f64 v[169:170], v[141:142], s[22:23], -v[169:170]
	v_fma_f64 v[209:210], v[145:146], s[22:23], v[197:198]
	v_fma_f64 v[145:146], v[145:146], s[22:23], -v[197:198]
	v_add_f64 v[147:148], v[163:164], v[147:148]
	v_mul_f64 v[163:164], v[187:188], s[16:17]
	v_mul_f64 v[197:198], v[189:190], s[26:27]
	v_add_f64 v[131:132], v[143:144], v[131:132]
	v_fma_f64 v[143:144], v[139:140], s[14:15], -v[195:196]
	v_add_f64 v[149:150], v[169:170], v[149:150]
	v_mul_f64 v[169:170], v[189:190], s[16:17]
	v_add_f64 v[191:192], v[203:204], v[191:192]
	v_add_f64 v[133:134], v[145:146], v[133:134]
	v_fma_f64 v[203:204], v[139:140], s[18:19], -v[163:164]
	v_fma_f64 v[163:164], v[139:140], s[18:19], v[163:164]
	v_fma_f64 v[145:146], v[141:142], s[14:15], v[197:198]
	v_add_f64 v[193:194], v[205:206], v[193:194]
	v_add_f64 v[143:144], v[143:144], v[151:152]
	v_fma_f64 v[205:206], v[141:142], s[18:19], v[169:170]
	v_fma_f64 v[169:170], v[141:142], s[18:19], -v[169:170]
	v_mul_f64 v[151:152], v[187:188], s[24:25]
	v_add_f64 v[179:180], v[207:208], v[179:180]
	v_add_f64 v[163:164], v[163:164], v[183:184]
	v_add_f64 v[183:184], v[173:174], -v[177:178]
	v_add_f64 v[145:146], v[145:146], v[153:154]
	v_mul_f64 v[153:154], v[189:190], s[24:25]
	v_fma_f64 v[195:196], v[139:140], s[14:15], v[195:196]
	v_add_f64 v[169:170], v[169:170], v[185:186]
	v_add_f64 v[185:186], v[171:172], -v[175:176]
	v_fma_f64 v[207:208], v[139:140], s[28:29], -v[151:152]
	v_mul_f64 v[187:188], v[187:188], s[30:31]
	v_fma_f64 v[151:152], v[139:140], s[28:29], v[151:152]
	v_add_f64 v[171:172], v[171:172], v[175:176]
	v_mul_f64 v[175:176], v[183:184], s[24:25]
	v_add_f64 v[181:182], v[209:210], v[181:182]
	v_fma_f64 v[197:198], v[141:142], s[14:15], -v[197:198]
	v_fma_f64 v[209:210], v[141:142], s[28:29], v[153:154]
	v_mul_f64 v[189:190], v[189:190], s[30:31]
	v_fma_f64 v[153:154], v[141:142], s[28:29], -v[153:154]
	v_add_f64 v[173:174], v[173:174], v[177:178]
	v_mul_f64 v[177:178], v[185:186], s[24:25]
	v_add_f64 v[155:156], v[195:196], v[155:156]
	v_fma_f64 v[195:196], v[139:140], s[8:9], -v[187:188]
	v_add_f64 v[199:200], v[151:152], v[199:200]
	v_fma_f64 v[139:140], v[139:140], s[8:9], v[187:188]
	v_fma_f64 v[151:152], v[171:172], s[28:29], -v[175:176]
	v_mul_f64 v[187:188], v[183:184], s[34:35]
	v_add_f64 v[157:158], v[197:198], v[157:158]
	v_fma_f64 v[197:198], v[141:142], s[8:9], v[189:190]
	v_add_f64 v[201:202], v[153:154], v[201:202]
	v_fma_f64 v[141:142], v[141:142], s[8:9], -v[189:190]
	v_fma_f64 v[153:154], v[173:174], s[28:29], v[177:178]
	v_mul_f64 v[189:190], v[185:186], s[34:35]
	v_add_f64 v[179:180], v[195:196], v[179:180]
	v_add_f64 v[195:196], v[139:140], v[131:132]
	;; [unrolled: 1-line block ×3, first 2 shown]
	v_fma_f64 v[139:140], v[171:172], s[28:29], v[175:176]
	v_fma_f64 v[151:152], v[171:172], s[18:19], -v[187:188]
	v_mul_f64 v[175:176], v[183:184], s[20:21]
	v_add_f64 v[181:182], v[197:198], v[181:182]
	v_add_f64 v[197:198], v[141:142], v[133:134]
	;; [unrolled: 1-line block ×3, first 2 shown]
	v_fma_f64 v[141:142], v[173:174], s[28:29], -v[177:178]
	v_fma_f64 v[153:154], v[173:174], s[18:19], v[189:190]
	v_fma_f64 v[177:178], v[171:172], s[18:19], v[187:188]
	v_fma_f64 v[187:188], v[173:174], s[18:19], -v[189:190]
	v_mul_f64 v[189:190], v[185:186], s[20:21]
	v_add_f64 v[159:160], v[203:204], v[159:160]
	v_add_f64 v[143:144], v[151:152], v[143:144]
	v_fma_f64 v[151:152], v[171:172], s[22:23], -v[175:176]
	v_add_f64 v[161:162], v[205:206], v[161:162]
	v_add_f64 v[139:140], v[139:140], v[147:148]
	;; [unrolled: 1-line block ×4, first 2 shown]
	v_fma_f64 v[153:154], v[173:174], s[22:23], v[189:190]
	v_fma_f64 v[155:156], v[171:172], s[22:23], v[175:176]
	v_mul_f64 v[175:176], v[183:184], s[30:31]
	v_mul_f64 v[177:178], v[185:186], s[30:31]
	v_add_f64 v[141:142], v[141:142], v[149:150]
	v_add_f64 v[149:150], v[187:188], v[157:158]
	v_fma_f64 v[157:158], v[173:174], s[22:23], -v[189:190]
	v_add_f64 v[151:152], v[151:152], v[159:160]
	v_mul_f64 v[159:160], v[183:184], s[12:13]
	v_mul_f64 v[183:184], v[185:186], s[12:13]
	v_add_f64 v[165:166], v[207:208], v[165:166]
	v_add_f64 v[167:168], v[209:210], v[167:168]
	;; [unrolled: 1-line block ×4, first 2 shown]
	v_fma_f64 v[161:162], v[171:172], s[8:9], -v[175:176]
	v_fma_f64 v[163:164], v[173:174], s[8:9], v[177:178]
	v_add_f64 v[157:158], v[157:158], v[169:170]
	v_fma_f64 v[169:170], v[171:172], s[8:9], v[175:176]
	v_fma_f64 v[175:176], v[171:172], s[14:15], -v[159:160]
	v_fma_f64 v[185:186], v[173:174], s[14:15], v[183:184]
	v_fma_f64 v[171:172], v[171:172], s[14:15], v[159:160]
	v_fma_f64 v[183:184], v[173:174], s[14:15], -v[183:184]
	v_fma_f64 v[177:178], v[173:174], s[8:9], -v[177:178]
	v_add_f64 v[159:160], v[161:162], v[165:166]
	v_add_f64 v[161:162], v[163:164], v[167:168]
	;; [unrolled: 1-line block ×8, first 2 shown]
	ds_write_b128 v126, v[135:138]
	ds_write_b128 v126, v[131:134] offset:1936
	ds_write_b128 v126, v[143:146] offset:3872
	;; [unrolled: 1-line block ×10, first 2 shown]
	v_add_co_u32_e32 v131, vcc, s11, v127
	v_addc_co_u32_e32 v132, vcc, 0, v128, vcc
	s_waitcnt lgkmcnt(0)
	s_barrier
	global_load_dwordx4 v[131:134], v[131:132], off offset:816
	v_add_co_u32_e32 v139, vcc, s10, v127
	v_addc_co_u32_e32 v140, vcc, 0, v128, vcc
	global_load_dwordx4 v[135:138], v[139:140], off offset:1936
	s_nop 0
	global_load_dwordx4 v[139:142], v[139:140], off offset:3872
	s_movk_i32 s10, 0x6000
	v_add_co_u32_e32 v143, vcc, s10, v127
	v_addc_co_u32_e32 v144, vcc, 0, v128, vcc
	s_movk_i32 s10, 0x7000
	global_load_dwordx4 v[143:146], v[143:144], off offset:2528
	v_add_co_u32_e32 v151, vcc, s10, v127
	v_addc_co_u32_e32 v152, vcc, 0, v128, vcc
	global_load_dwordx4 v[147:150], v[151:152], off offset:368
	s_nop 0
	global_load_dwordx4 v[151:154], v[151:152], off offset:2304
	s_mov_b32 s10, 0x8000
	v_add_co_u32_e32 v163, vcc, s10, v127
	v_addc_co_u32_e32 v164, vcc, 0, v128, vcc
	global_load_dwordx4 v[155:158], v[163:164], off offset:144
	global_load_dwordx4 v[159:162], v[163:164], off offset:2080
	s_nop 0
	global_load_dwordx4 v[163:166], v[163:164], off offset:4016
	s_mov_b32 s10, 0x9000
	v_add_co_u32_e32 v127, vcc, s10, v127
	v_addc_co_u32_e32 v128, vcc, 0, v128, vcc
	global_load_dwordx4 v[167:170], v[127:128], off offset:1856
	global_load_dwordx4 v[171:174], v[127:128], off offset:3792
	ds_read_b128 v[175:178], v126
	ds_read_b128 v[179:182], v126 offset:1936
	ds_read_b128 v[183:186], v126 offset:3872
	;; [unrolled: 1-line block ×3, first 2 shown]
	s_mov_b32 s11, 0x3fe82f19
	s_mov_b32 s10, s20
	s_waitcnt vmcnt(10) lgkmcnt(3)
	v_mul_f64 v[127:128], v[177:178], v[133:134]
	v_mul_f64 v[133:134], v[175:176], v[133:134]
	s_waitcnt vmcnt(9) lgkmcnt(2)
	v_mul_f64 v[191:192], v[181:182], v[137:138]
	v_mul_f64 v[137:138], v[179:180], v[137:138]
	;; [unrolled: 3-line block ×3, first 2 shown]
	v_fma_f64 v[175:176], v[175:176], v[131:132], -v[127:128]
	v_fma_f64 v[177:178], v[177:178], v[131:132], v[133:134]
	v_fma_f64 v[131:132], v[179:180], v[135:136], -v[191:192]
	v_fma_f64 v[133:134], v[181:182], v[135:136], v[137:138]
	;; [unrolled: 2-line block ×3, first 2 shown]
	ds_write_b128 v126, v[175:178]
	ds_write_b128 v126, v[131:134] offset:1936
	ds_read_b128 v[131:134], v126 offset:7744
	ds_read_b128 v[139:142], v126 offset:11616
	;; [unrolled: 1-line block ×3, first 2 shown]
	ds_write_b128 v126, v[135:138] offset:3872
	ds_read_b128 v[135:138], v126 offset:9680
	s_waitcnt vmcnt(7) lgkmcnt(7)
	v_mul_f64 v[127:128], v[189:190], v[145:146]
	v_mul_f64 v[145:146], v[187:188], v[145:146]
	s_waitcnt vmcnt(6) lgkmcnt(4)
	v_mul_f64 v[183:184], v[133:134], v[149:150]
	v_mul_f64 v[149:150], v[131:132], v[149:150]
	;; [unrolled: 3-line block ×3, first 2 shown]
	s_waitcnt vmcnt(4)
	v_mul_f64 v[191:192], v[141:142], v[157:158]
	v_mul_f64 v[157:158], v[139:140], v[157:158]
	v_fma_f64 v[179:180], v[187:188], v[143:144], -v[127:128]
	v_fma_f64 v[181:182], v[189:190], v[143:144], v[145:146]
	ds_read_b128 v[143:146], v126 offset:15488
	v_fma_f64 v[131:132], v[131:132], v[147:148], -v[183:184]
	v_fma_f64 v[133:134], v[133:134], v[147:148], v[149:150]
	ds_read_b128 v[147:150], v126 offset:17424
	;; [unrolled: 3-line block ×3, first 2 shown]
	v_fma_f64 v[141:142], v[141:142], v[155:156], v[157:158]
	s_waitcnt vmcnt(3)
	v_mul_f64 v[127:128], v[177:178], v[161:162]
	v_mul_f64 v[157:158], v[175:176], v[161:162]
	s_waitcnt vmcnt(2) lgkmcnt(2)
	v_mul_f64 v[161:162], v[145:146], v[165:166]
	v_mul_f64 v[165:166], v[143:144], v[165:166]
	s_waitcnt vmcnt(1) lgkmcnt(1)
	;; [unrolled: 3-line block ×3, first 2 shown]
	v_mul_f64 v[185:186], v[153:154], v[173:174]
	v_mul_f64 v[173:174], v[151:152], v[173:174]
	v_fma_f64 v[139:140], v[139:140], v[155:156], -v[191:192]
	v_fma_f64 v[155:156], v[175:176], v[159:160], -v[127:128]
	v_fma_f64 v[157:158], v[177:178], v[159:160], v[157:158]
	v_fma_f64 v[143:144], v[143:144], v[163:164], -v[161:162]
	v_fma_f64 v[145:146], v[145:146], v[163:164], v[165:166]
	;; [unrolled: 2-line block ×4, first 2 shown]
	ds_write_b128 v126, v[179:182] offset:5808
	ds_write_b128 v126, v[131:134] offset:7744
	;; [unrolled: 1-line block ×8, first 2 shown]
	s_waitcnt lgkmcnt(0)
	s_barrier
	ds_read_b128 v[131:134], v126
	ds_read_b128 v[135:138], v126 offset:1936
	ds_read_b128 v[139:142], v126 offset:3872
	;; [unrolled: 1-line block ×3, first 2 shown]
	s_waitcnt lgkmcnt(2)
	v_add_f64 v[147:148], v[133:134], v[137:138]
	v_add_f64 v[127:128], v[131:132], v[135:136]
	s_waitcnt lgkmcnt(1)
	v_add_f64 v[147:148], v[147:148], v[141:142]
	v_add_f64 v[127:128], v[127:128], v[139:140]
	s_waitcnt lgkmcnt(0)
	v_add_f64 v[155:156], v[147:148], v[145:146]
	ds_read_b128 v[147:150], v126 offset:7744
	ds_read_b128 v[151:154], v126 offset:9680
	v_add_f64 v[127:128], v[127:128], v[143:144]
	s_waitcnt lgkmcnt(1)
	v_add_f64 v[155:156], v[155:156], v[149:150]
	v_add_f64 v[127:128], v[127:128], v[147:148]
	s_waitcnt lgkmcnt(0)
	v_add_f64 v[163:164], v[155:156], v[153:154]
	ds_read_b128 v[155:158], v126 offset:11616
	ds_read_b128 v[159:162], v126 offset:13552
	v_add_f64 v[127:128], v[127:128], v[151:152]
	ds_read_b128 v[171:174], v126 offset:17424
	s_waitcnt lgkmcnt(2)
	v_add_f64 v[167:168], v[163:164], v[157:158]
	ds_read_b128 v[163:166], v126 offset:19360
	v_add_f64 v[127:128], v[127:128], v[155:156]
	s_waitcnt lgkmcnt(1)
	v_add_f64 v[209:210], v[141:142], -v[173:174]
	v_add_f64 v[141:142], v[141:142], v[173:174]
	v_add_f64 v[213:214], v[139:140], v[171:172]
	s_waitcnt lgkmcnt(0)
	v_add_f64 v[179:180], v[137:138], v[165:166]
	v_add_f64 v[177:178], v[137:138], -v[165:166]
	v_add_f64 v[175:176], v[167:168], v[161:162]
	ds_read_b128 v[167:170], v126 offset:15488
	v_add_f64 v[181:182], v[135:136], -v[163:164]
	v_add_f64 v[127:128], v[127:128], v[159:160]
	v_add_f64 v[139:140], v[139:140], -v[171:172]
	v_mul_f64 v[215:216], v[141:142], s[8:9]
	v_mul_f64 v[185:186], v[179:180], s[18:19]
	;; [unrolled: 1-line block ×3, first 2 shown]
	s_waitcnt lgkmcnt(0)
	v_add_f64 v[137:138], v[175:176], v[169:170]
	v_add_f64 v[175:176], v[135:136], v[163:164]
	v_mul_f64 v[203:204], v[179:180], s[22:23]
	v_add_f64 v[127:128], v[127:128], v[167:168]
	v_mul_f64 v[183:184], v[177:178], s[16:17]
	v_mul_f64 v[191:192], v[177:178], s[6:7]
	v_fma_f64 v[189:190], v[181:182], s[34:35], v[185:186]
	v_mul_f64 v[193:194], v[179:180], s[8:9]
	v_add_f64 v[137:138], v[137:138], v[173:174]
	v_mul_f64 v[195:196], v[179:180], s[14:15]
	v_fma_f64 v[205:206], v[175:176], s[22:23], v[201:202]
	v_fma_f64 v[207:208], v[181:182], s[10:11], v[203:204]
	v_fma_f64 v[201:202], v[175:176], s[22:23], -v[201:202]
	v_fma_f64 v[203:204], v[181:182], s[20:21], v[203:204]
	v_mul_f64 v[179:180], v[179:180], s[28:29]
	v_add_f64 v[127:128], v[127:128], v[171:172]
	v_add_f64 v[137:138], v[137:138], v[165:166]
	;; [unrolled: 1-line block ×3, first 2 shown]
	v_mul_f64 v[189:190], v[177:178], s[12:13]
	v_mul_f64 v[177:178], v[177:178], s[24:25]
	v_fma_f64 v[187:188], v[175:176], s[18:19], v[183:184]
	v_add_f64 v[173:174], v[131:132], v[201:202]
	v_add_f64 v[201:202], v[133:134], v[203:204]
	v_fma_f64 v[211:212], v[181:182], s[36:37], v[179:180]
	v_add_f64 v[135:136], v[127:128], v[163:164]
	v_fma_f64 v[127:128], v[175:176], s[18:19], -v[183:184]
	v_fma_f64 v[183:184], v[181:182], s[16:17], v[185:186]
	v_fma_f64 v[203:204], v[175:176], s[28:29], v[177:178]
	v_add_f64 v[163:164], v[131:132], v[187:188]
	v_fma_f64 v[185:186], v[175:176], s[8:9], v[191:192]
	v_fma_f64 v[187:188], v[181:182], s[30:31], v[193:194]
	v_fma_f64 v[191:192], v[175:176], s[8:9], -v[191:192]
	v_fma_f64 v[193:194], v[181:182], s[6:7], v[193:194]
	v_fma_f64 v[197:198], v[175:176], s[14:15], v[189:190]
	;; [unrolled: 1-line block ×3, first 2 shown]
	v_fma_f64 v[189:190], v[175:176], s[14:15], -v[189:190]
	v_fma_f64 v[195:196], v[181:182], s[12:13], v[195:196]
	v_mul_f64 v[171:172], v[209:210], s[6:7]
	v_fma_f64 v[175:176], v[175:176], s[28:29], -v[177:178]
	v_fma_f64 v[177:178], v[181:182], s[24:25], v[179:180]
	v_add_f64 v[179:180], v[131:132], v[203:204]
	v_add_f64 v[181:182], v[133:134], v[211:212]
	v_mul_f64 v[203:204], v[209:210], s[20:21]
	v_mul_f64 v[211:212], v[141:142], s[22:23]
	v_fma_f64 v[219:220], v[139:140], s[30:31], v[215:216]
	v_add_f64 v[127:128], v[131:132], v[127:128]
	v_add_f64 v[183:184], v[133:134], v[183:184]
	;; [unrolled: 1-line block ×12, first 2 shown]
	v_fma_f64 v[217:218], v[213:214], s[8:9], v[171:172]
	v_add_f64 v[131:132], v[131:132], v[175:176]
	v_add_f64 v[133:134], v[133:134], v[177:178]
	v_fma_f64 v[171:172], v[213:214], s[8:9], -v[171:172]
	v_fma_f64 v[175:176], v[139:140], s[6:7], v[215:216]
	v_fma_f64 v[177:178], v[213:214], s[22:23], v[203:204]
	;; [unrolled: 1-line block ×3, first 2 shown]
	v_add_f64 v[165:166], v[219:220], v[165:166]
	v_mul_f64 v[219:220], v[141:142], s[28:29]
	v_add_f64 v[163:164], v[217:218], v[163:164]
	v_mul_f64 v[217:218], v[209:210], s[36:37]
	v_add_f64 v[127:128], v[171:172], v[127:128]
	v_add_f64 v[171:172], v[175:176], v[183:184]
	;; [unrolled: 1-line block ×4, first 2 shown]
	v_fma_f64 v[183:184], v[213:214], s[22:23], -v[203:204]
	v_fma_f64 v[185:186], v[139:140], s[20:21], v[211:212]
	v_fma_f64 v[203:204], v[139:140], s[24:25], v[219:220]
	v_mul_f64 v[211:212], v[209:210], s[26:27]
	v_mul_f64 v[215:216], v[141:142], s[14:15]
	v_fma_f64 v[187:188], v[213:214], s[28:29], v[217:218]
	v_mul_f64 v[209:210], v[209:210], s[34:35]
	v_mul_f64 v[141:142], v[141:142], s[18:19]
	v_add_f64 v[183:184], v[183:184], v[191:192]
	v_add_f64 v[185:186], v[185:186], v[193:194]
	;; [unrolled: 1-line block ×3, first 2 shown]
	v_fma_f64 v[193:194], v[213:214], s[14:15], v[211:212]
	v_fma_f64 v[199:200], v[213:214], s[14:15], -v[211:212]
	v_fma_f64 v[203:204], v[139:140], s[26:27], v[215:216]
	v_add_f64 v[187:188], v[187:188], v[197:198]
	v_fma_f64 v[197:198], v[139:140], s[12:13], v[215:216]
	v_fma_f64 v[219:220], v[139:140], s[36:37], v[219:220]
	v_fma_f64 v[217:218], v[213:214], s[28:29], -v[217:218]
	v_add_f64 v[193:194], v[193:194], v[205:206]
	v_add_f64 v[205:206], v[145:146], -v[169:170]
	v_add_f64 v[145:146], v[145:146], v[169:170]
	v_add_f64 v[169:170], v[199:200], v[173:174]
	;; [unrolled: 1-line block ×3, first 2 shown]
	v_fma_f64 v[199:200], v[213:214], s[18:19], v[209:210]
	v_fma_f64 v[201:202], v[139:140], s[16:17], v[141:142]
	v_add_f64 v[197:198], v[197:198], v[207:208]
	v_add_f64 v[203:204], v[143:144], v[167:168]
	v_add_f64 v[143:144], v[143:144], -v[167:168]
	v_mul_f64 v[167:168], v[205:206], s[12:13]
	v_mul_f64 v[207:208], v[145:146], s[14:15]
	v_fma_f64 v[209:210], v[213:214], s[18:19], -v[209:210]
	v_fma_f64 v[139:140], v[139:140], s[34:35], v[141:142]
	v_add_f64 v[141:142], v[199:200], v[179:180]
	v_add_f64 v[179:180], v[201:202], v[181:182]
	v_mul_f64 v[181:182], v[205:206], s[36:37]
	v_mul_f64 v[199:200], v[145:146], s[28:29]
	v_fma_f64 v[201:202], v[203:204], s[14:15], v[167:168]
	v_fma_f64 v[211:212], v[143:144], s[26:27], v[207:208]
	v_add_f64 v[131:132], v[209:210], v[131:132]
	v_add_f64 v[133:134], v[139:140], v[133:134]
	v_fma_f64 v[139:140], v[203:204], s[14:15], -v[167:168]
	v_fma_f64 v[167:168], v[143:144], s[12:13], v[207:208]
	v_fma_f64 v[207:208], v[203:204], s[28:29], v[181:182]
	;; [unrolled: 1-line block ×3, first 2 shown]
	v_add_f64 v[163:164], v[201:202], v[163:164]
	v_add_f64 v[165:166], v[211:212], v[165:166]
	v_mul_f64 v[201:202], v[205:206], s[30:31]
	v_mul_f64 v[211:212], v[145:146], s[8:9]
	v_add_f64 v[127:128], v[139:140], v[127:128]
	v_add_f64 v[139:140], v[167:168], v[171:172]
	;; [unrolled: 1-line block ×4, first 2 shown]
	v_fma_f64 v[177:178], v[143:144], s[36:37], v[199:200]
	v_mul_f64 v[207:208], v[205:206], s[16:17]
	v_add_f64 v[189:190], v[217:218], v[189:190]
	v_add_f64 v[195:196], v[219:220], v[195:196]
	v_fma_f64 v[175:176], v[203:204], s[28:29], -v[181:182]
	v_fma_f64 v[181:182], v[203:204], s[8:9], v[201:202]
	v_fma_f64 v[199:200], v[143:144], s[6:7], v[211:212]
	v_mul_f64 v[209:210], v[145:146], s[18:19]
	v_fma_f64 v[201:202], v[203:204], s[8:9], -v[201:202]
	v_fma_f64 v[211:212], v[143:144], s[30:31], v[211:212]
	v_add_f64 v[177:178], v[177:178], v[185:186]
	v_fma_f64 v[185:186], v[203:204], s[18:19], v[207:208]
	v_add_f64 v[175:176], v[175:176], v[183:184]
	v_add_f64 v[181:182], v[181:182], v[187:188]
	;; [unrolled: 1-line block ×3, first 2 shown]
	v_fma_f64 v[187:188], v[143:144], s[34:35], v[209:210]
	v_add_f64 v[189:190], v[201:202], v[189:190]
	v_add_f64 v[191:192], v[211:212], v[195:196]
	v_mul_f64 v[195:196], v[205:206], s[20:21]
	v_mul_f64 v[145:146], v[145:146], s[22:23]
	v_fma_f64 v[199:200], v[203:204], s[18:19], -v[207:208]
	v_fma_f64 v[201:202], v[143:144], s[16:17], v[209:210]
	v_add_f64 v[185:186], v[185:186], v[193:194]
	v_add_f64 v[193:194], v[149:150], -v[161:162]
	v_add_f64 v[149:150], v[149:150], v[161:162]
	v_add_f64 v[187:188], v[187:188], v[197:198]
	v_fma_f64 v[161:162], v[203:204], s[22:23], v[195:196]
	v_fma_f64 v[197:198], v[143:144], s[10:11], v[145:146]
	v_add_f64 v[169:170], v[199:200], v[169:170]
	v_add_f64 v[173:174], v[201:202], v[173:174]
	;; [unrolled: 1-line block ×3, first 2 shown]
	v_add_f64 v[147:148], v[147:148], -v[159:160]
	v_mul_f64 v[159:160], v[193:194], s[20:21]
	v_mul_f64 v[201:202], v[149:150], s[22:23]
	v_add_f64 v[141:142], v[161:162], v[141:142]
	v_add_f64 v[161:162], v[197:198], v[179:180]
	v_fma_f64 v[179:180], v[203:204], s[22:23], -v[195:196]
	v_fma_f64 v[143:144], v[143:144], s[20:21], v[145:146]
	v_mul_f64 v[145:146], v[193:194], s[26:27]
	v_mul_f64 v[195:196], v[149:150], s[14:15]
	v_fma_f64 v[197:198], v[199:200], s[22:23], v[159:160]
	v_fma_f64 v[203:204], v[147:148], s[10:11], v[201:202]
	v_fma_f64 v[159:160], v[199:200], s[22:23], -v[159:160]
	v_fma_f64 v[201:202], v[147:148], s[20:21], v[201:202]
	v_add_f64 v[131:132], v[179:180], v[131:132]
	v_add_f64 v[133:134], v[143:144], v[133:134]
	v_fma_f64 v[143:144], v[199:200], s[14:15], v[145:146]
	v_fma_f64 v[179:180], v[147:148], s[12:13], v[195:196]
	;; [unrolled: 1-line block ×3, first 2 shown]
	v_add_f64 v[163:164], v[197:198], v[163:164]
	v_add_f64 v[127:128], v[159:160], v[127:128]
	;; [unrolled: 1-line block ×3, first 2 shown]
	v_mul_f64 v[139:140], v[193:194], s[16:17]
	v_mul_f64 v[197:198], v[149:150], s[18:19]
	v_fma_f64 v[145:146], v[199:200], s[14:15], -v[145:146]
	v_add_f64 v[143:144], v[143:144], v[167:168]
	v_add_f64 v[167:168], v[179:180], v[171:172]
	v_mul_f64 v[171:172], v[193:194], s[24:25]
	v_mul_f64 v[179:180], v[149:150], s[28:29]
	v_add_f64 v[177:178], v[195:196], v[177:178]
	v_fma_f64 v[201:202], v[199:200], s[18:19], v[139:140]
	v_fma_f64 v[139:140], v[199:200], s[18:19], -v[139:140]
	v_add_f64 v[195:196], v[153:154], -v[157:158]
	v_add_f64 v[157:158], v[153:154], v[157:158]
	v_add_f64 v[165:166], v[203:204], v[165:166]
	v_fma_f64 v[203:204], v[147:148], s[34:35], v[197:198]
	v_fma_f64 v[197:198], v[147:148], s[16:17], v[197:198]
	v_add_f64 v[175:176], v[145:146], v[175:176]
	v_mul_f64 v[145:146], v[149:150], s[8:9]
	v_add_f64 v[189:190], v[139:140], v[189:190]
	v_mul_f64 v[139:140], v[193:194], s[30:31]
	v_fma_f64 v[205:206], v[199:200], s[28:29], v[171:172]
	v_fma_f64 v[207:208], v[147:148], s[36:37], v[179:180]
	v_fma_f64 v[149:150], v[199:200], s[28:29], -v[171:172]
	v_fma_f64 v[153:154], v[147:148], s[24:25], v[179:180]
	v_add_f64 v[171:172], v[151:152], v[155:156]
	v_add_f64 v[179:180], v[151:152], -v[155:156]
	v_mul_f64 v[151:152], v[195:196], s[24:25]
	v_mul_f64 v[155:156], v[157:158], s[28:29]
	v_fma_f64 v[193:194], v[199:200], s[8:9], v[139:140]
	v_add_f64 v[191:192], v[197:198], v[191:192]
	v_fma_f64 v[197:198], v[147:148], s[6:7], v[145:146]
	v_fma_f64 v[139:140], v[199:200], s[8:9], -v[139:140]
	v_fma_f64 v[145:146], v[147:148], s[30:31], v[145:146]
	v_add_f64 v[169:170], v[149:150], v[169:170]
	v_add_f64 v[173:174], v[153:154], v[173:174]
	v_fma_f64 v[147:148], v[171:172], s[28:29], v[151:152]
	v_fma_f64 v[149:150], v[179:180], s[36:37], v[155:156]
	v_add_f64 v[193:194], v[193:194], v[141:142]
	v_mul_f64 v[141:142], v[195:196], s[34:35]
	v_mul_f64 v[153:154], v[157:158], s[18:19]
	v_add_f64 v[181:182], v[201:202], v[181:182]
	v_add_f64 v[199:200], v[139:140], v[131:132]
	;; [unrolled: 1-line block ×3, first 2 shown]
	v_fma_f64 v[139:140], v[171:172], s[28:29], -v[151:152]
	v_fma_f64 v[145:146], v[179:180], s[24:25], v[155:156]
	v_mul_f64 v[151:152], v[195:196], s[20:21]
	v_mul_f64 v[155:156], v[157:158], s[22:23]
	v_add_f64 v[197:198], v[197:198], v[161:162]
	v_add_f64 v[131:132], v[147:148], v[163:164]
	;; [unrolled: 1-line block ×3, first 2 shown]
	v_fma_f64 v[147:148], v[171:172], s[18:19], v[141:142]
	v_fma_f64 v[149:150], v[179:180], s[16:17], v[153:154]
	v_fma_f64 v[161:162], v[171:172], s[18:19], -v[141:142]
	v_add_f64 v[183:184], v[203:204], v[183:184]
	v_fma_f64 v[153:154], v[179:180], s[34:35], v[153:154]
	v_add_f64 v[139:140], v[139:140], v[127:128]
	v_add_f64 v[141:142], v[145:146], v[159:160]
	v_fma_f64 v[127:128], v[171:172], s[22:23], v[151:152]
	v_fma_f64 v[159:160], v[179:180], s[10:11], v[155:156]
	v_add_f64 v[143:144], v[147:148], v[143:144]
	v_add_f64 v[145:146], v[149:150], v[167:168]
	v_add_f64 v[147:148], v[161:162], v[175:176]
	v_fma_f64 v[161:162], v[171:172], s[22:23], -v[151:152]
	v_fma_f64 v[163:164], v[179:180], s[20:21], v[155:156]
	v_mul_f64 v[165:166], v[195:196], s[30:31]
	v_mul_f64 v[167:168], v[157:158], s[8:9]
	v_add_f64 v[149:150], v[153:154], v[177:178]
	v_add_f64 v[151:152], v[127:128], v[181:182]
	;; [unrolled: 1-line block ×3, first 2 shown]
	v_mul_f64 v[127:128], v[195:196], s[12:13]
	v_mul_f64 v[159:160], v[157:158], s[14:15]
	v_add_f64 v[185:186], v[205:206], v[185:186]
	v_add_f64 v[187:188], v[207:208], v[187:188]
	;; [unrolled: 1-line block ×4, first 2 shown]
	v_fma_f64 v[161:162], v[171:172], s[8:9], v[165:166]
	v_fma_f64 v[163:164], v[179:180], s[6:7], v[167:168]
	v_fma_f64 v[165:166], v[171:172], s[8:9], -v[165:166]
	v_fma_f64 v[167:168], v[179:180], s[30:31], v[167:168]
	v_fma_f64 v[175:176], v[171:172], s[14:15], v[127:128]
	;; [unrolled: 1-line block ×3, first 2 shown]
	v_fma_f64 v[127:128], v[171:172], s[14:15], -v[127:128]
	v_fma_f64 v[179:180], v[179:180], s[12:13], v[159:160]
	v_add_f64 v[159:160], v[161:162], v[185:186]
	v_add_f64 v[161:162], v[163:164], v[187:188]
	;; [unrolled: 1-line block ×8, first 2 shown]
	s_barrier
	ds_write_b128 v129, v[135:138]
	ds_write_b128 v129, v[131:134] offset:16
	ds_write_b128 v129, v[143:146] offset:32
	;; [unrolled: 1-line block ×10, first 2 shown]
	s_waitcnt lgkmcnt(0)
	s_barrier
	ds_read_b128 v[131:134], v126 offset:1936
	ds_read_b128 v[135:138], v126 offset:3872
	;; [unrolled: 1-line block ×3, first 2 shown]
	s_waitcnt lgkmcnt(2)
	v_mul_f64 v[127:128], v[70:71], v[133:134]
	v_mul_f64 v[70:71], v[70:71], v[131:132]
	s_waitcnt lgkmcnt(1)
	v_mul_f64 v[143:144], v[66:67], v[137:138]
	v_mul_f64 v[145:146], v[66:67], v[135:136]
	v_fma_f64 v[127:128], v[68:69], v[131:132], v[127:128]
	v_fma_f64 v[147:148], v[68:69], v[133:134], -v[70:71]
	ds_read_b128 v[66:69], v126
	v_fma_f64 v[143:144], v[64:65], v[135:136], v[143:144]
	v_fma_f64 v[145:146], v[64:65], v[137:138], -v[145:146]
	s_waitcnt lgkmcnt(1)
	v_mul_f64 v[64:65], v[50:51], v[141:142]
	v_mul_f64 v[50:51], v[50:51], v[139:140]
	ds_read_b128 v[131:134], v126 offset:7744
	ds_read_b128 v[135:138], v126 offset:9680
	s_waitcnt lgkmcnt(2)
	v_add_f64 v[70:71], v[66:67], v[127:128]
	v_add_f64 v[149:150], v[68:69], v[147:148]
	s_waitcnt lgkmcnt(1)
	v_mul_f64 v[151:152], v[46:47], v[133:134]
	v_fma_f64 v[139:140], v[48:49], v[139:140], v[64:65]
	v_fma_f64 v[141:142], v[48:49], v[141:142], -v[50:51]
	v_mul_f64 v[46:47], v[46:47], v[131:132]
	s_waitcnt lgkmcnt(0)
	v_mul_f64 v[64:65], v[74:75], v[137:138]
	v_add_f64 v[48:49], v[70:71], v[143:144]
	v_add_f64 v[50:51], v[149:150], v[145:146]
	v_mul_f64 v[70:71], v[74:75], v[135:136]
	v_fma_f64 v[149:150], v[44:45], v[131:132], v[151:152]
	v_fma_f64 v[74:75], v[44:45], v[133:134], -v[46:47]
	v_fma_f64 v[135:136], v[72:73], v[135:136], v[64:65]
	v_add_f64 v[131:132], v[48:49], v[139:140]
	v_add_f64 v[133:134], v[50:51], v[141:142]
	ds_read_b128 v[44:47], v126 offset:11616
	ds_read_b128 v[48:51], v126 offset:13552
	v_fma_f64 v[137:138], v[72:73], v[137:138], -v[70:71]
	s_waitcnt lgkmcnt(1)
	v_mul_f64 v[151:152], v[62:63], v[46:47]
	v_mul_f64 v[153:154], v[62:63], v[44:45]
	s_waitcnt lgkmcnt(0)
	v_mul_f64 v[159:160], v[58:59], v[50:51]
	v_mul_f64 v[58:59], v[58:59], v[48:49]
	v_add_f64 v[155:156], v[131:132], v[149:150]
	v_add_f64 v[157:158], v[133:134], v[74:75]
	ds_read_b128 v[62:65], v126 offset:15488
	ds_read_b128 v[70:73], v126 offset:17424
	;; [unrolled: 1-line block ×3, first 2 shown]
	s_waitcnt lgkmcnt(0)
	v_fma_f64 v[151:152], v[60:61], v[44:45], v[151:152]
	v_fma_f64 v[60:61], v[60:61], v[46:47], -v[153:154]
	v_mul_f64 v[153:154], v[54:55], v[64:65]
	v_fma_f64 v[48:49], v[56:57], v[48:49], v[159:160]
	v_fma_f64 v[50:51], v[56:57], v[50:51], -v[58:59]
	v_mul_f64 v[56:57], v[78:79], v[131:132]
	v_add_f64 v[44:45], v[155:156], v[135:136]
	v_add_f64 v[46:47], v[157:158], v[137:138]
	v_mul_f64 v[54:55], v[54:55], v[62:63]
	v_mul_f64 v[78:79], v[78:79], v[133:134]
	v_fma_f64 v[58:59], v[52:53], v[62:63], v[153:154]
	v_mul_f64 v[62:63], v[82:83], v[72:73]
	v_mul_f64 v[82:83], v[82:83], v[70:71]
	v_fma_f64 v[56:57], v[76:77], v[133:134], -v[56:57]
	v_add_f64 v[44:45], v[44:45], v[151:152]
	v_add_f64 v[46:47], v[46:47], v[60:61]
	v_fma_f64 v[52:53], v[52:53], v[64:65], -v[54:55]
	s_barrier
	v_fma_f64 v[54:55], v[80:81], v[70:71], v[62:63]
	v_fma_f64 v[62:63], v[76:77], v[131:132], v[78:79]
	v_fma_f64 v[64:65], v[80:81], v[72:73], -v[82:83]
	v_add_f64 v[70:71], v[147:148], -v[56:57]
	v_add_f64 v[72:73], v[147:148], v[56:57]
	v_add_f64 v[44:45], v[44:45], v[48:49]
	v_add_f64 v[46:47], v[46:47], v[50:51]
	v_add_f64 v[173:174], v[143:144], v[54:55]
	v_add_f64 v[76:77], v[127:128], v[62:63]
	v_add_f64 v[78:79], v[127:128], -v[62:63]
	v_mul_f64 v[161:162], v[70:71], s[20:21]
	v_mul_f64 v[163:164], v[72:73], s[22:23]
	v_add_f64 v[44:45], v[44:45], v[58:59]
	v_add_f64 v[46:47], v[46:47], v[52:53]
	v_mul_f64 v[80:81], v[70:71], s[16:17]
	v_mul_f64 v[82:83], v[72:73], s[18:19]
	;; [unrolled: 1-line block ×6, first 2 shown]
	v_fma_f64 v[165:166], v[76:77], s[22:23], v[161:162]
	v_fma_f64 v[167:168], v[78:79], s[10:11], v[163:164]
	v_fma_f64 v[161:162], v[76:77], s[22:23], -v[161:162]
	v_fma_f64 v[163:164], v[78:79], s[20:21], v[163:164]
	v_mul_f64 v[70:71], v[70:71], s[24:25]
	v_mul_f64 v[72:73], v[72:73], s[28:29]
	v_add_f64 v[169:170], v[145:146], -v[64:65]
	v_add_f64 v[44:45], v[44:45], v[54:55]
	v_add_f64 v[46:47], v[46:47], v[64:65]
	v_fma_f64 v[133:134], v[76:77], s[18:19], v[80:81]
	v_add_f64 v[64:65], v[145:146], v[64:65]
	v_add_f64 v[145:146], v[66:67], v[161:162]
	;; [unrolled: 1-line block ×3, first 2 shown]
	v_fma_f64 v[163:164], v[76:77], s[28:29], v[70:71]
	v_fma_f64 v[171:172], v[78:79], s[36:37], v[72:73]
	v_add_f64 v[54:55], v[143:144], -v[54:55]
	v_mul_f64 v[143:144], v[169:170], s[6:7]
	v_fma_f64 v[147:148], v[78:79], s[34:35], v[82:83]
	v_add_f64 v[44:45], v[44:45], v[62:63]
	v_add_f64 v[46:47], v[46:47], v[56:57]
	v_fma_f64 v[56:57], v[76:77], s[18:19], -v[80:81]
	v_fma_f64 v[62:63], v[78:79], s[16:17], v[82:83]
	v_fma_f64 v[80:81], v[76:77], s[8:9], v[127:128]
	;; [unrolled: 1-line block ×3, first 2 shown]
	v_add_f64 v[133:134], v[66:67], v[133:134]
	v_fma_f64 v[127:128], v[76:77], s[8:9], -v[127:128]
	v_fma_f64 v[131:132], v[78:79], s[6:7], v[131:132]
	v_fma_f64 v[157:158], v[76:77], s[14:15], v[153:154]
	;; [unrolled: 1-line block ×3, first 2 shown]
	v_fma_f64 v[153:154], v[76:77], s[14:15], -v[153:154]
	v_fma_f64 v[155:156], v[78:79], s[12:13], v[155:156]
	v_mul_f64 v[175:176], v[64:65], s[8:9]
	v_fma_f64 v[70:71], v[76:77], s[28:29], -v[70:71]
	v_fma_f64 v[72:73], v[78:79], s[24:25], v[72:73]
	v_add_f64 v[76:77], v[66:67], v[163:164]
	v_add_f64 v[78:79], v[68:69], v[171:172]
	v_mul_f64 v[163:164], v[169:170], s[20:21]
	v_mul_f64 v[171:172], v[64:65], s[22:23]
	v_fma_f64 v[177:178], v[173:174], s[8:9], v[143:144]
	v_add_f64 v[147:148], v[68:69], v[147:148]
	v_add_f64 v[56:57], v[66:67], v[56:57]
	;; [unrolled: 1-line block ×13, first 2 shown]
	v_fma_f64 v[179:180], v[54:55], s[30:31], v[175:176]
	v_add_f64 v[66:67], v[66:67], v[70:71]
	v_add_f64 v[68:69], v[68:69], v[72:73]
	v_fma_f64 v[70:71], v[173:174], s[8:9], -v[143:144]
	v_fma_f64 v[72:73], v[54:55], s[6:7], v[175:176]
	v_fma_f64 v[143:144], v[173:174], s[22:23], v[163:164]
	;; [unrolled: 1-line block ×3, first 2 shown]
	v_add_f64 v[133:134], v[177:178], v[133:134]
	v_mul_f64 v[177:178], v[169:170], s[36:37]
	v_add_f64 v[147:148], v[179:180], v[147:148]
	v_mul_f64 v[179:180], v[64:65], s[28:29]
	v_add_f64 v[56:57], v[70:71], v[56:57]
	v_add_f64 v[62:63], v[72:73], v[62:63]
	v_add_f64 v[70:71], v[143:144], v[80:81]
	v_add_f64 v[72:73], v[175:176], v[82:83]
	v_fma_f64 v[80:81], v[173:174], s[22:23], -v[163:164]
	v_fma_f64 v[82:83], v[54:55], s[20:21], v[171:172]
	v_fma_f64 v[143:144], v[173:174], s[28:29], v[177:178]
	v_mul_f64 v[171:172], v[169:170], s[26:27]
	v_fma_f64 v[163:164], v[54:55], s[24:25], v[179:180]
	v_mul_f64 v[175:176], v[64:65], s[14:15]
	v_mul_f64 v[169:170], v[169:170], s[34:35]
	;; [unrolled: 1-line block ×3, first 2 shown]
	v_add_f64 v[80:81], v[80:81], v[127:128]
	v_add_f64 v[82:83], v[82:83], v[131:132]
	;; [unrolled: 1-line block ×3, first 2 shown]
	v_fma_f64 v[143:144], v[173:174], s[14:15], v[171:172]
	v_add_f64 v[131:132], v[163:164], v[159:160]
	v_fma_f64 v[159:160], v[173:174], s[14:15], -v[171:172]
	v_fma_f64 v[163:164], v[54:55], s[26:27], v[175:176]
	v_fma_f64 v[157:158], v[54:55], s[12:13], v[175:176]
	;; [unrolled: 1-line block ×3, first 2 shown]
	v_fma_f64 v[177:178], v[173:174], s[28:29], -v[177:178]
	v_add_f64 v[143:144], v[143:144], v[165:166]
	v_add_f64 v[165:166], v[141:142], -v[52:53]
	v_add_f64 v[52:53], v[141:142], v[52:53]
	v_add_f64 v[141:142], v[159:160], v[145:146]
	;; [unrolled: 1-line block ×3, first 2 shown]
	v_fma_f64 v[159:160], v[173:174], s[18:19], v[169:170]
	v_fma_f64 v[161:162], v[54:55], s[16:17], v[64:65]
	v_add_f64 v[163:164], v[139:140], v[58:59]
	v_add_f64 v[58:59], v[139:140], -v[58:59]
	v_mul_f64 v[139:140], v[165:166], s[12:13]
	v_add_f64 v[157:158], v[157:158], v[167:168]
	v_mul_f64 v[167:168], v[52:53], s[14:15]
	v_fma_f64 v[169:170], v[173:174], s[18:19], -v[169:170]
	v_fma_f64 v[54:55], v[54:55], s[34:35], v[64:65]
	v_add_f64 v[64:65], v[159:160], v[76:77]
	v_add_f64 v[76:77], v[161:162], v[78:79]
	v_mul_f64 v[78:79], v[165:166], s[36:37]
	v_mul_f64 v[159:160], v[52:53], s[28:29]
	v_fma_f64 v[161:162], v[163:164], s[14:15], v[139:140]
	v_fma_f64 v[171:172], v[58:59], s[26:27], v[167:168]
	v_add_f64 v[66:67], v[169:170], v[66:67]
	v_add_f64 v[54:55], v[54:55], v[68:69]
	v_fma_f64 v[68:69], v[163:164], s[14:15], -v[139:140]
	v_fma_f64 v[139:140], v[58:59], s[12:13], v[167:168]
	v_fma_f64 v[167:168], v[163:164], s[28:29], v[78:79]
	v_fma_f64 v[169:170], v[58:59], s[24:25], v[159:160]
	v_add_f64 v[133:134], v[161:162], v[133:134]
	v_mul_f64 v[161:162], v[165:166], s[30:31]
	v_add_f64 v[147:148], v[171:172], v[147:148]
	v_mul_f64 v[171:172], v[52:53], s[8:9]
	v_add_f64 v[56:57], v[68:69], v[56:57]
	v_add_f64 v[62:63], v[139:140], v[62:63]
	;; [unrolled: 1-line block ×4, first 2 shown]
	v_fma_f64 v[72:73], v[163:164], s[28:29], -v[78:79]
	v_fma_f64 v[139:140], v[163:164], s[8:9], v[161:162]
	v_mul_f64 v[167:168], v[165:166], s[16:17]
	v_add_f64 v[153:154], v[177:178], v[153:154]
	v_add_f64 v[155:156], v[179:180], v[155:156]
	v_fma_f64 v[78:79], v[58:59], s[36:37], v[159:160]
	v_fma_f64 v[159:160], v[58:59], s[6:7], v[171:172]
	v_mul_f64 v[169:170], v[52:53], s[18:19]
	v_fma_f64 v[161:162], v[163:164], s[8:9], -v[161:162]
	v_fma_f64 v[171:172], v[58:59], s[30:31], v[171:172]
	v_add_f64 v[72:73], v[72:73], v[80:81]
	v_add_f64 v[80:81], v[139:140], v[127:128]
	v_fma_f64 v[127:128], v[163:164], s[18:19], v[167:168]
	v_add_f64 v[78:79], v[78:79], v[82:83]
	v_add_f64 v[82:83], v[159:160], v[131:132]
	;; [unrolled: 3-line block ×3, first 2 shown]
	v_mul_f64 v[155:156], v[165:166], s[20:21]
	v_mul_f64 v[52:53], v[52:53], s[22:23]
	v_fma_f64 v[159:160], v[163:164], s[18:19], -v[167:168]
	v_add_f64 v[127:128], v[127:128], v[143:144]
	v_add_f64 v[143:144], v[74:75], -v[50:51]
	v_fma_f64 v[161:162], v[58:59], s[16:17], v[169:170]
	v_add_f64 v[131:132], v[131:132], v[157:158]
	v_add_f64 v[50:51], v[74:75], v[50:51]
	v_fma_f64 v[74:75], v[163:164], s[22:23], v[155:156]
	v_fma_f64 v[157:158], v[58:59], s[10:11], v[52:53]
	v_add_f64 v[141:142], v[159:160], v[141:142]
	v_add_f64 v[159:160], v[149:150], v[48:49]
	v_add_f64 v[48:49], v[149:150], -v[48:49]
	v_mul_f64 v[149:150], v[143:144], s[20:21]
	v_add_f64 v[145:146], v[161:162], v[145:146]
	v_mul_f64 v[161:162], v[50:51], s[22:23]
	v_add_f64 v[64:65], v[74:75], v[64:65]
	v_add_f64 v[74:75], v[157:158], v[76:77]
	v_fma_f64 v[76:77], v[163:164], s[22:23], -v[155:156]
	v_fma_f64 v[52:53], v[58:59], s[20:21], v[52:53]
	v_mul_f64 v[58:59], v[143:144], s[26:27]
	v_fma_f64 v[157:158], v[159:160], s[22:23], v[149:150]
	v_fma_f64 v[149:150], v[159:160], s[22:23], -v[149:150]
	v_mul_f64 v[155:156], v[50:51], s[14:15]
	v_fma_f64 v[163:164], v[48:49], s[10:11], v[161:162]
	v_fma_f64 v[161:162], v[48:49], s[20:21], v[161:162]
	v_add_f64 v[66:67], v[76:77], v[66:67]
	v_add_f64 v[52:53], v[52:53], v[54:55]
	v_fma_f64 v[54:55], v[159:160], s[14:15], v[58:59]
	v_add_f64 v[133:134], v[157:158], v[133:134]
	v_add_f64 v[56:57], v[149:150], v[56:57]
	v_mul_f64 v[149:150], v[143:144], s[16:17]
	v_mul_f64 v[157:158], v[50:51], s[18:19]
	v_fma_f64 v[76:77], v[48:49], s[12:13], v[155:156]
	v_add_f64 v[147:148], v[163:164], v[147:148]
	v_add_f64 v[62:63], v[161:162], v[62:63]
	v_fma_f64 v[58:59], v[159:160], s[14:15], -v[58:59]
	v_add_f64 v[68:69], v[54:55], v[68:69]
	v_mul_f64 v[54:55], v[143:144], s[24:25]
	v_fma_f64 v[161:162], v[159:160], s[18:19], v[149:150]
	v_fma_f64 v[163:164], v[48:49], s[34:35], v[157:158]
	v_fma_f64 v[149:150], v[159:160], s[18:19], -v[149:150]
	v_fma_f64 v[157:158], v[48:49], s[16:17], v[157:158]
	v_add_f64 v[70:71], v[76:77], v[70:71]
	v_mul_f64 v[76:77], v[50:51], s[28:29]
	v_fma_f64 v[155:156], v[48:49], s[26:27], v[155:156]
	v_add_f64 v[72:73], v[58:59], v[72:73]
	v_mul_f64 v[58:59], v[143:144], s[30:31]
	v_fma_f64 v[165:166], v[159:160], s[28:29], v[54:55]
	v_add_f64 v[139:140], v[149:150], v[139:140]
	v_add_f64 v[149:150], v[157:158], v[153:154]
	v_add_f64 v[153:154], v[137:138], -v[60:61]
	v_add_f64 v[137:138], v[137:138], v[60:61]
	v_fma_f64 v[167:168], v[48:49], s[36:37], v[76:77]
	v_add_f64 v[78:79], v[155:156], v[78:79]
	v_mul_f64 v[50:51], v[50:51], s[8:9]
	v_fma_f64 v[54:55], v[159:160], s[28:29], -v[54:55]
	v_fma_f64 v[60:61], v[48:49], s[24:25], v[76:77]
	v_add_f64 v[76:77], v[135:136], v[151:152]
	v_add_f64 v[135:136], v[135:136], -v[151:152]
	v_mul_f64 v[143:144], v[153:154], s[24:25]
	v_mul_f64 v[151:152], v[137:138], s[28:29]
	v_fma_f64 v[155:156], v[159:160], s[8:9], v[58:59]
	v_fma_f64 v[157:158], v[48:49], s[6:7], v[50:51]
	v_add_f64 v[141:142], v[54:55], v[141:142]
	v_add_f64 v[145:146], v[60:61], v[145:146]
	v_fma_f64 v[54:55], v[159:160], s[8:9], -v[58:59]
	v_fma_f64 v[48:49], v[48:49], s[30:31], v[50:51]
	v_fma_f64 v[50:51], v[76:77], s[28:29], v[143:144]
	;; [unrolled: 1-line block ×3, first 2 shown]
	v_add_f64 v[155:156], v[155:156], v[64:65]
	v_mul_f64 v[60:61], v[153:154], s[34:35]
	v_mul_f64 v[64:65], v[137:138], s[18:19]
	v_add_f64 v[80:81], v[161:162], v[80:81]
	v_add_f64 v[157:158], v[157:158], v[74:75]
	;; [unrolled: 1-line block ×6, first 2 shown]
	v_fma_f64 v[52:53], v[76:77], s[28:29], -v[143:144]
	v_fma_f64 v[58:59], v[76:77], s[18:19], v[60:61]
	v_fma_f64 v[66:67], v[135:136], s[16:17], v[64:65]
	v_mul_f64 v[74:75], v[153:154], s[20:21]
	v_mul_f64 v[133:134], v[137:138], s[22:23]
	v_fma_f64 v[54:55], v[135:136], s[24:25], v[151:152]
	v_fma_f64 v[60:61], v[76:77], s[18:19], -v[60:61]
	v_fma_f64 v[64:65], v[135:136], s[34:35], v[64:65]
	v_add_f64 v[82:83], v[163:164], v[82:83]
	v_add_f64 v[52:53], v[52:53], v[56:57]
	;; [unrolled: 1-line block ×4, first 2 shown]
	v_fma_f64 v[66:67], v[76:77], s[22:23], v[74:75]
	v_fma_f64 v[68:69], v[135:136], s[10:11], v[133:134]
	v_add_f64 v[54:55], v[54:55], v[62:63]
	v_add_f64 v[60:61], v[60:61], v[72:73]
	v_add_f64 v[62:63], v[64:65], v[78:79]
	v_fma_f64 v[70:71], v[76:77], s[22:23], -v[74:75]
	v_fma_f64 v[72:73], v[135:136], s[20:21], v[133:134]
	v_mul_f64 v[74:75], v[153:154], s[30:31]
	v_mul_f64 v[78:79], v[137:138], s[8:9]
	v_add_f64 v[64:65], v[66:67], v[80:81]
	v_add_f64 v[66:67], v[68:69], v[82:83]
	v_mul_f64 v[80:81], v[153:154], s[12:13]
	v_mul_f64 v[82:83], v[137:138], s[14:15]
	v_add_f64 v[127:128], v[165:166], v[127:128]
	v_add_f64 v[131:132], v[167:168], v[131:132]
	v_add_f64 v[68:69], v[70:71], v[139:140]
	v_add_f64 v[70:71], v[72:73], v[149:150]
	v_fma_f64 v[72:73], v[76:77], s[8:9], v[74:75]
	v_fma_f64 v[133:134], v[135:136], s[6:7], v[78:79]
	;; [unrolled: 1-line block ×5, first 2 shown]
	v_fma_f64 v[147:148], v[76:77], s[14:15], -v[80:81]
	v_fma_f64 v[135:136], v[135:136], s[12:13], v[82:83]
	v_fma_f64 v[137:138], v[76:77], s[8:9], -v[74:75]
	v_add_f64 v[72:73], v[72:73], v[127:128]
	v_add_f64 v[74:75], v[133:134], v[131:132]
	;; [unrolled: 1-line block ×8, first 2 shown]
	ds_write_b128 v130, v[44:47]
	ds_write_b128 v130, v[48:51] offset:176
	ds_write_b128 v130, v[56:59] offset:352
	;; [unrolled: 1-line block ×10, first 2 shown]
	s_waitcnt lgkmcnt(0)
	s_barrier
	ds_read_b128 v[44:47], v126 offset:1936
	ds_read_b128 v[48:51], v126 offset:3872
	;; [unrolled: 1-line block ×3, first 2 shown]
	s_waitcnt lgkmcnt(2)
	v_mul_f64 v[58:59], v[110:111], v[44:45]
	v_mul_f64 v[56:57], v[110:111], v[46:47]
	s_waitcnt lgkmcnt(1)
	v_mul_f64 v[60:61], v[106:107], v[50:51]
	v_mul_f64 v[62:63], v[106:107], v[48:49]
	v_fma_f64 v[70:71], v[108:109], v[46:47], -v[58:59]
	v_fma_f64 v[68:69], v[108:109], v[44:45], v[56:57]
	ds_read_b128 v[44:47], v126
	v_fma_f64 v[72:73], v[104:105], v[48:49], v[60:61]
	v_fma_f64 v[74:75], v[104:105], v[50:51], -v[62:63]
	s_waitcnt lgkmcnt(1)
	v_mul_f64 v[60:61], v[90:91], v[54:55]
	v_mul_f64 v[62:63], v[90:91], v[52:53]
	ds_read_b128 v[48:51], v126 offset:7744
	ds_read_b128 v[56:59], v126 offset:9680
	s_waitcnt lgkmcnt(2)
	v_add_f64 v[66:67], v[46:47], v[70:71]
	v_add_f64 v[64:65], v[44:45], v[68:69]
	s_waitcnt lgkmcnt(1)
	v_mul_f64 v[76:77], v[86:87], v[50:51]
	v_fma_f64 v[78:79], v[88:89], v[52:53], v[60:61]
	v_fma_f64 v[80:81], v[88:89], v[54:55], -v[62:63]
	v_mul_f64 v[52:53], v[86:87], v[48:49]
	s_waitcnt lgkmcnt(0)
	v_mul_f64 v[62:63], v[114:115], v[58:59]
	v_add_f64 v[60:61], v[66:67], v[74:75]
	v_add_f64 v[54:55], v[64:65], v[72:73]
	v_mul_f64 v[64:65], v[114:115], v[56:57]
	v_fma_f64 v[76:77], v[84:85], v[48:49], v[76:77]
	v_fma_f64 v[82:83], v[84:85], v[50:51], -v[52:53]
	v_fma_f64 v[84:85], v[112:113], v[56:57], v[62:63]
	v_add_f64 v[60:61], v[60:61], v[80:81]
	v_add_f64 v[66:67], v[54:55], v[78:79]
	ds_read_b128 v[48:51], v126 offset:11616
	ds_read_b128 v[52:55], v126 offset:13552
	v_fma_f64 v[86:87], v[112:113], v[58:59], -v[64:65]
	s_waitcnt lgkmcnt(1)
	v_mul_f64 v[88:89], v[102:103], v[50:51]
	v_mul_f64 v[90:91], v[102:103], v[48:49]
	v_add_f64 v[104:105], v[60:61], v[82:83]
	s_waitcnt lgkmcnt(0)
	v_mul_f64 v[106:107], v[98:99], v[54:55]
	v_mul_f64 v[98:99], v[98:99], v[52:53]
	v_add_f64 v[102:103], v[66:67], v[76:77]
	ds_read_b128 v[56:59], v126 offset:15488
	ds_read_b128 v[60:63], v126 offset:17424
	;; [unrolled: 1-line block ×3, first 2 shown]
	v_fma_f64 v[88:89], v[100:101], v[48:49], v[88:89]
	v_fma_f64 v[90:91], v[100:101], v[50:51], -v[90:91]
	v_add_f64 v[50:51], v[104:105], v[86:87]
	s_waitcnt lgkmcnt(2)
	v_mul_f64 v[100:101], v[94:95], v[58:59]
	v_fma_f64 v[52:53], v[96:97], v[52:53], v[106:107]
	v_fma_f64 v[54:55], v[96:97], v[54:55], -v[98:99]
	s_waitcnt lgkmcnt(0)
	v_mul_f64 v[96:97], v[118:119], v[64:65]
	v_add_f64 v[48:49], v[102:103], v[84:85]
	v_mul_f64 v[94:95], v[94:95], v[56:57]
	v_mul_f64 v[102:103], v[122:123], v[60:61]
	v_add_f64 v[50:51], v[50:51], v[90:91]
	v_fma_f64 v[56:57], v[92:93], v[56:57], v[100:101]
	v_mul_f64 v[100:101], v[118:119], v[66:67]
	v_mul_f64 v[98:99], v[122:123], v[62:63]
	v_fma_f64 v[66:67], v[116:117], v[66:67], -v[96:97]
	v_add_f64 v[48:49], v[48:49], v[88:89]
	v_fma_f64 v[58:59], v[92:93], v[58:59], -v[94:95]
	v_fma_f64 v[62:63], v[120:121], v[62:63], -v[102:103]
	v_add_f64 v[50:51], v[50:51], v[54:55]
	v_fma_f64 v[64:65], v[116:117], v[64:65], v[100:101]
	v_fma_f64 v[60:61], v[120:121], v[60:61], v[98:99]
	v_add_f64 v[92:93], v[70:71], -v[66:67]
	v_add_f64 v[70:71], v[70:71], v[66:67]
	v_add_f64 v[48:49], v[48:49], v[52:53]
	v_add_f64 v[127:128], v[74:75], -v[62:63]
	v_add_f64 v[50:51], v[50:51], v[58:59]
	v_add_f64 v[94:95], v[68:69], v[64:65]
	v_add_f64 v[68:69], v[68:69], -v[64:65]
	v_mul_f64 v[116:117], v[92:93], s[20:21]
	v_mul_f64 v[118:119], v[70:71], s[22:23]
	v_add_f64 v[48:49], v[48:49], v[56:57]
	v_mul_f64 v[96:97], v[92:93], s[16:17]
	v_mul_f64 v[98:99], v[70:71], s[18:19]
	v_add_f64 v[50:51], v[50:51], v[62:63]
	v_mul_f64 v[100:101], v[92:93], s[6:7]
	v_mul_f64 v[102:103], v[70:71], s[8:9]
	;; [unrolled: 1-line block ×4, first 2 shown]
	v_fma_f64 v[120:121], v[94:95], s[22:23], v[116:117]
	v_fma_f64 v[122:123], v[68:69], s[10:11], v[118:119]
	v_fma_f64 v[116:117], v[94:95], s[22:23], -v[116:117]
	v_fma_f64 v[118:119], v[68:69], s[20:21], v[118:119]
	v_mul_f64 v[92:93], v[92:93], s[24:25]
	v_mul_f64 v[70:71], v[70:71], s[28:29]
	v_add_f64 v[62:63], v[74:75], v[62:63]
	v_add_f64 v[48:49], v[48:49], v[60:61]
	v_fma_f64 v[106:107], v[68:69], s[34:35], v[98:99]
	v_add_f64 v[131:132], v[72:73], v[60:61]
	v_add_f64 v[74:75], v[44:45], v[116:117]
	;; [unrolled: 1-line block ×3, first 2 shown]
	v_fma_f64 v[118:119], v[94:95], s[28:29], v[92:93]
	v_fma_f64 v[129:130], v[68:69], s[36:37], v[70:71]
	v_add_f64 v[60:61], v[72:73], -v[60:61]
	v_mul_f64 v[133:134], v[62:63], s[8:9]
	v_fma_f64 v[104:105], v[94:95], s[18:19], v[96:97]
	v_add_f64 v[48:49], v[48:49], v[64:65]
	v_add_f64 v[50:51], v[50:51], v[66:67]
	v_fma_f64 v[64:65], v[94:95], s[18:19], -v[96:97]
	v_fma_f64 v[66:67], v[68:69], s[16:17], v[98:99]
	v_fma_f64 v[96:97], v[94:95], s[8:9], v[100:101]
	;; [unrolled: 1-line block ×3, first 2 shown]
	v_add_f64 v[106:107], v[46:47], v[106:107]
	v_fma_f64 v[100:101], v[94:95], s[8:9], -v[100:101]
	v_fma_f64 v[102:103], v[68:69], s[6:7], v[102:103]
	v_fma_f64 v[112:113], v[94:95], s[14:15], v[108:109]
	;; [unrolled: 1-line block ×3, first 2 shown]
	v_fma_f64 v[108:109], v[94:95], s[14:15], -v[108:109]
	v_fma_f64 v[110:111], v[68:69], s[12:13], v[110:111]
	v_mul_f64 v[72:73], v[127:128], s[6:7]
	v_fma_f64 v[92:93], v[94:95], s[28:29], -v[92:93]
	v_fma_f64 v[68:69], v[68:69], s[24:25], v[70:71]
	v_add_f64 v[70:71], v[44:45], v[118:119]
	v_add_f64 v[94:95], v[46:47], v[129:130]
	v_mul_f64 v[118:119], v[127:128], s[20:21]
	v_mul_f64 v[129:130], v[62:63], s[22:23]
	v_fma_f64 v[137:138], v[60:61], s[30:31], v[133:134]
	v_add_f64 v[104:105], v[44:45], v[104:105]
	v_add_f64 v[64:65], v[44:45], v[64:65]
	;; [unrolled: 1-line block ×13, first 2 shown]
	v_fma_f64 v[135:136], v[131:132], s[8:9], v[72:73]
	v_add_f64 v[44:45], v[44:45], v[92:93]
	v_add_f64 v[46:47], v[46:47], v[68:69]
	v_fma_f64 v[68:69], v[131:132], s[8:9], -v[72:73]
	v_fma_f64 v[72:73], v[60:61], s[6:7], v[133:134]
	v_fma_f64 v[92:93], v[131:132], s[22:23], v[118:119]
	v_fma_f64 v[133:134], v[60:61], s[10:11], v[129:130]
	v_add_f64 v[106:107], v[137:138], v[106:107]
	v_mul_f64 v[137:138], v[62:63], s[28:29]
	v_add_f64 v[104:105], v[135:136], v[104:105]
	v_mul_f64 v[135:136], v[127:128], s[36:37]
	v_add_f64 v[64:65], v[68:69], v[64:65]
	v_add_f64 v[66:67], v[72:73], v[66:67]
	;; [unrolled: 1-line block ×4, first 2 shown]
	v_fma_f64 v[92:93], v[131:132], s[22:23], -v[118:119]
	v_fma_f64 v[96:97], v[60:61], s[20:21], v[129:130]
	v_fma_f64 v[118:119], v[60:61], s[24:25], v[137:138]
	v_mul_f64 v[129:130], v[127:128], s[26:27]
	v_mul_f64 v[133:134], v[62:63], s[14:15]
	v_fma_f64 v[98:99], v[131:132], s[28:29], v[135:136]
	v_mul_f64 v[127:128], v[127:128], s[34:35]
	v_mul_f64 v[62:63], v[62:63], s[18:19]
	v_add_f64 v[92:93], v[92:93], v[100:101]
	v_add_f64 v[96:97], v[96:97], v[102:103]
	;; [unrolled: 1-line block ×3, first 2 shown]
	v_fma_f64 v[102:103], v[131:132], s[14:15], v[129:130]
	v_fma_f64 v[114:115], v[131:132], s[14:15], -v[129:130]
	v_fma_f64 v[118:119], v[60:61], s[26:27], v[133:134]
	v_add_f64 v[98:99], v[98:99], v[112:113]
	v_fma_f64 v[112:113], v[60:61], s[12:13], v[133:134]
	v_fma_f64 v[137:138], v[60:61], s[36:37], v[137:138]
	v_fma_f64 v[135:136], v[131:132], s[28:29], -v[135:136]
	v_add_f64 v[102:103], v[102:103], v[120:121]
	v_add_f64 v[120:121], v[80:81], -v[58:59]
	v_add_f64 v[58:59], v[80:81], v[58:59]
	v_add_f64 v[74:75], v[114:115], v[74:75]
	;; [unrolled: 1-line block ×3, first 2 shown]
	v_fma_f64 v[114:115], v[131:132], s[18:19], v[127:128]
	v_fma_f64 v[116:117], v[60:61], s[16:17], v[62:63]
	v_add_f64 v[112:113], v[112:113], v[122:123]
	v_add_f64 v[118:119], v[78:79], v[56:57]
	v_add_f64 v[56:57], v[78:79], -v[56:57]
	v_mul_f64 v[78:79], v[120:121], s[12:13]
	v_mul_f64 v[122:123], v[58:59], s[14:15]
	v_fma_f64 v[60:61], v[60:61], s[34:35], v[62:63]
	v_add_f64 v[62:63], v[114:115], v[70:71]
	v_add_f64 v[70:71], v[116:117], v[94:95]
	v_mul_f64 v[94:95], v[120:121], s[36:37]
	v_fma_f64 v[127:128], v[131:132], s[18:19], -v[127:128]
	v_mul_f64 v[114:115], v[58:59], s[28:29]
	v_fma_f64 v[116:117], v[118:119], s[14:15], v[78:79]
	v_fma_f64 v[129:130], v[56:57], s[26:27], v[122:123]
	v_add_f64 v[46:47], v[60:61], v[46:47]
	v_fma_f64 v[60:61], v[118:119], s[14:15], -v[78:79]
	v_fma_f64 v[78:79], v[56:57], s[12:13], v[122:123]
	v_fma_f64 v[122:123], v[118:119], s[28:29], v[94:95]
	v_add_f64 v[44:45], v[127:128], v[44:45]
	v_fma_f64 v[127:128], v[56:57], s[24:25], v[114:115]
	v_add_f64 v[104:105], v[116:117], v[104:105]
	v_add_f64 v[106:107], v[129:130], v[106:107]
	v_mul_f64 v[116:117], v[120:121], s[30:31]
	v_mul_f64 v[129:130], v[58:59], s[8:9]
	v_add_f64 v[60:61], v[60:61], v[64:65]
	v_add_f64 v[64:65], v[78:79], v[66:67]
	;; [unrolled: 1-line block ×3, first 2 shown]
	v_fma_f64 v[78:79], v[56:57], s[36:37], v[114:115]
	v_mul_f64 v[122:123], v[120:121], s[16:17]
	v_add_f64 v[68:69], v[127:128], v[72:73]
	v_fma_f64 v[72:73], v[118:119], s[28:29], -v[94:95]
	v_fma_f64 v[94:95], v[118:119], s[8:9], v[116:117]
	v_fma_f64 v[114:115], v[56:57], s[6:7], v[129:130]
	v_mul_f64 v[127:128], v[58:59], s[18:19]
	v_add_f64 v[108:109], v[135:136], v[108:109]
	v_add_f64 v[78:79], v[78:79], v[96:97]
	v_fma_f64 v[96:97], v[118:119], s[18:19], v[122:123]
	v_add_f64 v[110:111], v[137:138], v[110:111]
	v_fma_f64 v[116:117], v[118:119], s[8:9], -v[116:117]
	v_fma_f64 v[129:130], v[56:57], s[30:31], v[129:130]
	v_add_f64 v[72:73], v[72:73], v[92:93]
	v_add_f64 v[92:93], v[94:95], v[98:99]
	;; [unrolled: 1-line block ×3, first 2 shown]
	v_fma_f64 v[98:99], v[56:57], s[34:35], v[127:128]
	v_mul_f64 v[58:59], v[58:59], s[22:23]
	v_fma_f64 v[114:115], v[118:119], s[18:19], -v[122:123]
	v_add_f64 v[96:97], v[96:97], v[102:103]
	v_add_f64 v[102:103], v[82:83], -v[54:55]
	v_add_f64 v[100:101], v[116:117], v[108:109]
	v_add_f64 v[108:109], v[129:130], v[110:111]
	v_mul_f64 v[110:111], v[120:121], s[20:21]
	v_fma_f64 v[116:117], v[56:57], s[16:17], v[127:128]
	v_add_f64 v[98:99], v[98:99], v[112:113]
	v_add_f64 v[54:55], v[82:83], v[54:55]
	v_fma_f64 v[112:113], v[56:57], s[10:11], v[58:59]
	v_add_f64 v[74:75], v[114:115], v[74:75]
	v_add_f64 v[114:115], v[76:77], v[52:53]
	v_add_f64 v[52:53], v[76:77], -v[52:53]
	v_mul_f64 v[76:77], v[102:103], s[20:21]
	v_fma_f64 v[82:83], v[118:119], s[22:23], v[110:111]
	v_add_f64 v[80:81], v[116:117], v[80:81]
	v_mul_f64 v[116:117], v[54:55], s[22:23]
	v_add_f64 v[70:71], v[112:113], v[70:71]
	v_fma_f64 v[56:57], v[56:57], s[20:21], v[58:59]
	v_mul_f64 v[58:59], v[102:103], s[26:27]
	v_fma_f64 v[112:113], v[114:115], s[22:23], v[76:77]
	v_fma_f64 v[76:77], v[114:115], s[22:23], -v[76:77]
	v_add_f64 v[62:63], v[82:83], v[62:63]
	v_fma_f64 v[82:83], v[118:119], s[22:23], -v[110:111]
	v_mul_f64 v[110:111], v[54:55], s[14:15]
	v_fma_f64 v[118:119], v[52:53], s[10:11], v[116:117]
	v_fma_f64 v[116:117], v[52:53], s[20:21], v[116:117]
	v_add_f64 v[46:47], v[56:57], v[46:47]
	v_add_f64 v[104:105], v[112:113], v[104:105]
	;; [unrolled: 1-line block ×3, first 2 shown]
	v_mul_f64 v[76:77], v[102:103], s[16:17]
	v_mul_f64 v[112:113], v[54:55], s[18:19]
	v_add_f64 v[44:45], v[82:83], v[44:45]
	v_fma_f64 v[56:57], v[114:115], s[14:15], v[58:59]
	v_fma_f64 v[82:83], v[52:53], s[12:13], v[110:111]
	v_add_f64 v[106:107], v[118:119], v[106:107]
	v_add_f64 v[64:65], v[116:117], v[64:65]
	v_fma_f64 v[58:59], v[114:115], s[14:15], -v[58:59]
	v_fma_f64 v[116:117], v[114:115], s[18:19], v[76:77]
	v_fma_f64 v[118:119], v[52:53], s[34:35], v[112:113]
	v_fma_f64 v[76:77], v[114:115], s[18:19], -v[76:77]
	v_fma_f64 v[112:113], v[52:53], s[16:17], v[112:113]
	v_add_f64 v[56:57], v[56:57], v[66:67]
	v_add_f64 v[66:67], v[82:83], v[68:69]
	v_mul_f64 v[68:69], v[102:103], s[24:25]
	v_mul_f64 v[82:83], v[54:55], s[28:29]
	v_fma_f64 v[110:111], v[52:53], s[26:27], v[110:111]
	v_add_f64 v[72:73], v[58:59], v[72:73]
	v_add_f64 v[76:77], v[76:77], v[100:101]
	;; [unrolled: 1-line block ×3, first 2 shown]
	v_add_f64 v[108:109], v[86:87], -v[90:91]
	v_add_f64 v[86:87], v[86:87], v[90:91]
	v_mul_f64 v[58:59], v[102:103], s[30:31]
	v_mul_f64 v[54:55], v[54:55], s[8:9]
	v_fma_f64 v[120:121], v[114:115], s[28:29], v[68:69]
	v_fma_f64 v[122:123], v[52:53], s[36:37], v[82:83]
	v_add_f64 v[78:79], v[110:111], v[78:79]
	v_fma_f64 v[68:69], v[114:115], s[28:29], -v[68:69]
	v_fma_f64 v[82:83], v[52:53], s[24:25], v[82:83]
	v_add_f64 v[90:91], v[84:85], v[88:89]
	v_add_f64 v[84:85], v[84:85], -v[88:89]
	v_mul_f64 v[88:89], v[108:109], s[24:25]
	v_mul_f64 v[102:103], v[86:87], s[28:29]
	v_fma_f64 v[110:111], v[114:115], s[8:9], v[58:59]
	v_fma_f64 v[112:113], v[52:53], s[6:7], v[54:55]
	v_add_f64 v[92:93], v[116:117], v[92:93]
	v_add_f64 v[94:95], v[118:119], v[94:95]
	v_add_f64 v[116:117], v[68:69], v[74:75]
	v_add_f64 v[118:119], v[82:83], v[80:81]
	v_fma_f64 v[58:59], v[114:115], s[8:9], -v[58:59]
	v_fma_f64 v[52:53], v[52:53], s[30:31], v[54:55]
	v_fma_f64 v[54:55], v[90:91], s[28:29], v[88:89]
	;; [unrolled: 1-line block ×3, first 2 shown]
	v_add_f64 v[80:81], v[110:111], v[62:63]
	v_add_f64 v[82:83], v[112:113], v[70:71]
	v_mul_f64 v[62:63], v[108:109], s[34:35]
	v_mul_f64 v[70:71], v[86:87], s[18:19]
	v_add_f64 v[110:111], v[58:59], v[44:45]
	v_add_f64 v[112:113], v[52:53], v[46:47]
	;; [unrolled: 1-line block ×4, first 2 shown]
	v_fma_f64 v[52:53], v[90:91], s[28:29], -v[88:89]
	v_fma_f64 v[54:55], v[84:85], s[24:25], v[102:103]
	v_fma_f64 v[58:59], v[90:91], s[18:19], v[62:63]
	;; [unrolled: 1-line block ×3, first 2 shown]
	v_mul_f64 v[74:75], v[108:109], s[20:21]
	v_fma_f64 v[62:63], v[90:91], s[18:19], -v[62:63]
	v_fma_f64 v[70:71], v[84:85], s[34:35], v[70:71]
	v_mul_f64 v[88:89], v[86:87], s[22:23]
	v_add_f64 v[52:53], v[52:53], v[60:61]
	v_add_f64 v[54:55], v[54:55], v[64:65]
	;; [unrolled: 1-line block ×4, first 2 shown]
	v_fma_f64 v[64:65], v[90:91], s[22:23], v[74:75]
	v_add_f64 v[60:61], v[62:63], v[72:73]
	v_fma_f64 v[68:69], v[90:91], s[22:23], -v[74:75]
	v_mul_f64 v[72:73], v[108:109], s[30:31]
	v_mul_f64 v[74:75], v[86:87], s[8:9]
	v_add_f64 v[62:63], v[70:71], v[78:79]
	v_fma_f64 v[66:67], v[84:85], s[10:11], v[88:89]
	v_fma_f64 v[70:71], v[84:85], s[20:21], v[88:89]
	v_mul_f64 v[78:79], v[108:109], s[12:13]
	v_mul_f64 v[86:87], v[86:87], s[14:15]
	v_add_f64 v[96:97], v[120:121], v[96:97]
	v_add_f64 v[98:99], v[122:123], v[98:99]
	;; [unrolled: 1-line block ×3, first 2 shown]
	v_fma_f64 v[76:77], v[90:91], s[8:9], v[72:73]
	v_fma_f64 v[88:89], v[84:85], s[6:7], v[74:75]
	v_add_f64 v[66:67], v[66:67], v[94:95]
	v_add_f64 v[70:71], v[70:71], v[100:101]
	v_fma_f64 v[94:95], v[90:91], s[14:15], v[78:79]
	v_fma_f64 v[100:101], v[84:85], s[26:27], v[86:87]
	v_fma_f64 v[78:79], v[90:91], s[14:15], -v[78:79]
	v_fma_f64 v[86:87], v[84:85], s[12:13], v[86:87]
	v_add_f64 v[64:65], v[64:65], v[92:93]
	v_fma_f64 v[92:93], v[90:91], s[8:9], -v[72:73]
	v_fma_f64 v[90:91], v[84:85], s[30:31], v[74:75]
	v_add_f64 v[72:73], v[76:77], v[96:97]
	v_add_f64 v[74:75], v[88:89], v[98:99]
	;; [unrolled: 1-line block ×8, first 2 shown]
	ds_write_b128 v126, v[48:51]
	ds_write_b128 v126, v[44:47] offset:1936
	ds_write_b128 v126, v[56:59] offset:3872
	;; [unrolled: 1-line block ×10, first 2 shown]
	s_waitcnt lgkmcnt(0)
	s_barrier
	ds_read_b128 v[44:47], v126
	ds_read_b128 v[48:51], v126 offset:1936
	v_mad_u64_u32 v[52:53], s[6:7], s2, v124, 0
	s_waitcnt lgkmcnt(1)
	v_mul_f64 v[54:55], v[42:43], v[46:47]
	v_mul_f64 v[42:43], v[42:43], v[44:45]
	v_mad_u64_u32 v[56:57], s[2:3], s3, v124, v[53:54]
	v_mad_u64_u32 v[57:58], s[2:3], s0, v125, 0
	v_fma_f64 v[44:45], v[40:41], v[44:45], v[54:55]
	v_fma_f64 v[42:43], v[40:41], v[46:47], -v[42:43]
	v_mov_b32_e32 v40, v58
	v_mad_u64_u32 v[46:47], s[2:3], s1, v125, v[40:41]
	s_mov_b32 s2, 0x3fdb1246
	s_mov_b32 s3, 0x3f489e7c
	v_mov_b32_e32 v58, v46
	s_waitcnt lgkmcnt(0)
	v_mul_f64 v[46:47], v[22:23], v[50:51]
	v_mul_f64 v[22:23], v[22:23], v[48:49]
	v_mov_b32_e32 v53, v56
	v_mul_f64 v[40:41], v[44:45], s[2:3]
	v_mul_f64 v[42:43], v[42:43], s[2:3]
	v_lshlrev_b64 v[44:45], 4, v[52:53]
	v_mov_b32_e32 v52, s5
	v_add_co_u32_e32 v53, vcc, s4, v44
	v_fma_f64 v[46:47], v[20:21], v[48:49], v[46:47]
	v_fma_f64 v[48:49], v[20:21], v[50:51], -v[22:23]
	ds_read_b128 v[20:23], v126 offset:3872
	v_addc_co_u32_e32 v52, vcc, v52, v45, vcc
	v_lshlrev_b64 v[44:45], 4, v[57:58]
	s_mulk_i32 s1, 0x790
	v_add_co_u32_e32 v50, vcc, v53, v44
	v_addc_co_u32_e32 v51, vcc, v52, v45, vcc
	global_store_dwordx4 v[50:51], v[40:43], off
	s_mul_hi_u32 s4, s0, 0x790
	v_mul_f64 v[40:41], v[46:47], s[2:3]
	ds_read_b128 v[44:47], v126 offset:5808
	s_waitcnt lgkmcnt(1)
	v_mul_f64 v[52:53], v[2:3], v[22:23]
	v_mul_f64 v[2:3], v[2:3], v[20:21]
	;; [unrolled: 1-line block ×3, first 2 shown]
	s_add_i32 s1, s4, s1
	s_waitcnt lgkmcnt(0)
	v_mul_f64 v[48:49], v[30:31], v[46:47]
	v_mul_f64 v[30:31], v[30:31], v[44:45]
	s_mulk_i32 s0, 0x790
	v_mov_b32_e32 v54, s1
	v_fma_f64 v[20:21], v[0:1], v[20:21], v[52:53]
	v_fma_f64 v[2:3], v[0:1], v[22:23], -v[2:3]
	v_add_co_u32_e32 v50, vcc, s0, v50
	v_addc_co_u32_e32 v51, vcc, v51, v54, vcc
	global_store_dwordx4 v[50:51], v[40:43], off
	v_mov_b32_e32 v52, s1
	v_mul_f64 v[0:1], v[20:21], s[2:3]
	ds_read_b128 v[20:23], v126 offset:7744
	v_mul_f64 v[2:3], v[2:3], s[2:3]
	v_fma_f64 v[40:41], v[28:29], v[44:45], v[48:49]
	v_fma_f64 v[42:43], v[28:29], v[46:47], -v[30:31]
	ds_read_b128 v[28:31], v126 offset:9680
	s_waitcnt lgkmcnt(1)
	v_mul_f64 v[44:45], v[6:7], v[22:23]
	v_mul_f64 v[6:7], v[6:7], v[20:21]
	v_add_co_u32_e32 v46, vcc, s0, v50
	v_addc_co_u32_e32 v47, vcc, v51, v52, vcc
	global_store_dwordx4 v[46:47], v[0:3], off
	v_fma_f64 v[20:21], v[4:5], v[20:21], v[44:45]
	v_mul_f64 v[0:1], v[40:41], s[2:3]
	v_mul_f64 v[2:3], v[42:43], s[2:3]
	v_fma_f64 v[4:5], v[4:5], v[22:23], -v[6:7]
	s_waitcnt lgkmcnt(0)
	v_mul_f64 v[22:23], v[34:35], v[30:31]
	v_mul_f64 v[34:35], v[34:35], v[28:29]
	v_mov_b32_e32 v41, s1
	v_add_co_u32_e32 v40, vcc, s0, v46
	v_addc_co_u32_e32 v41, vcc, v47, v41, vcc
	global_store_dwordx4 v[40:41], v[0:3], off
	v_fma_f64 v[28:29], v[32:33], v[28:29], v[22:23]
	v_mul_f64 v[2:3], v[4:5], s[2:3]
	ds_read_b128 v[4:7], v126 offset:11616
	v_mul_f64 v[0:1], v[20:21], s[2:3]
	ds_read_b128 v[20:23], v126 offset:13552
	v_fma_f64 v[30:31], v[32:33], v[30:31], -v[34:35]
	v_mov_b32_e32 v42, s1
	s_waitcnt lgkmcnt(1)
	v_mul_f64 v[32:33], v[10:11], v[6:7]
	v_mul_f64 v[10:11], v[10:11], v[4:5]
	v_add_co_u32_e32 v34, vcc, s0, v40
	v_addc_co_u32_e32 v35, vcc, v41, v42, vcc
	global_store_dwordx4 v[34:35], v[0:3], off
	v_fma_f64 v[4:5], v[8:9], v[4:5], v[32:33]
	v_mul_f64 v[0:1], v[28:29], s[2:3]
	v_mul_f64 v[2:3], v[30:31], s[2:3]
	v_fma_f64 v[6:7], v[8:9], v[6:7], -v[10:11]
	s_waitcnt lgkmcnt(0)
	v_mul_f64 v[8:9], v[38:39], v[22:23]
	v_mul_f64 v[10:11], v[38:39], v[20:21]
	v_mov_b32_e32 v29, s1
	v_add_co_u32_e32 v28, vcc, s0, v34
	v_addc_co_u32_e32 v29, vcc, v35, v29, vcc
	global_store_dwordx4 v[28:29], v[0:3], off
	v_fma_f64 v[20:21], v[36:37], v[20:21], v[8:9]
	v_mul_f64 v[0:1], v[4:5], s[2:3]
	v_mul_f64 v[2:3], v[6:7], s[2:3]
	ds_read_b128 v[4:7], v126 offset:15488
	v_fma_f64 v[22:23], v[36:37], v[22:23], -v[10:11]
	ds_read_b128 v[8:11], v126 offset:17424
	v_mov_b32_e32 v32, s1
	v_add_co_u32_e32 v28, vcc, s0, v28
	s_waitcnt lgkmcnt(1)
	v_mul_f64 v[30:31], v[14:15], v[6:7]
	v_mul_f64 v[14:15], v[14:15], v[4:5]
	v_addc_co_u32_e32 v29, vcc, v29, v32, vcc
	global_store_dwordx4 v[28:29], v[0:3], off
	s_nop 0
	v_mul_f64 v[0:1], v[20:21], s[2:3]
	v_mul_f64 v[2:3], v[22:23], s[2:3]
	v_fma_f64 v[20:21], v[12:13], v[4:5], v[30:31]
	v_fma_f64 v[12:13], v[12:13], v[6:7], -v[14:15]
	ds_read_b128 v[4:7], v126 offset:19360
	v_mov_b32_e32 v22, s1
	v_add_co_u32_e32 v14, vcc, s0, v28
	v_addc_co_u32_e32 v15, vcc, v29, v22, vcc
	s_waitcnt lgkmcnt(1)
	v_mul_f64 v[22:23], v[18:19], v[10:11]
	v_mul_f64 v[18:19], v[18:19], v[8:9]
	s_waitcnt lgkmcnt(0)
	v_mul_f64 v[28:29], v[26:27], v[6:7]
	v_mul_f64 v[26:27], v[26:27], v[4:5]
	global_store_dwordx4 v[14:15], v[0:3], off
	v_fma_f64 v[8:9], v[16:17], v[8:9], v[22:23]
	v_mul_f64 v[0:1], v[20:21], s[2:3]
	v_mul_f64 v[2:3], v[12:13], s[2:3]
	v_fma_f64 v[10:11], v[16:17], v[10:11], -v[18:19]
	v_fma_f64 v[4:5], v[24:25], v[4:5], v[28:29]
	v_fma_f64 v[6:7], v[24:25], v[6:7], -v[26:27]
	v_mov_b32_e32 v13, s1
	v_add_co_u32_e32 v12, vcc, s0, v14
	v_addc_co_u32_e32 v13, vcc, v15, v13, vcc
	global_store_dwordx4 v[12:13], v[0:3], off
	v_mul_f64 v[4:5], v[4:5], s[2:3]
	v_mul_f64 v[0:1], v[8:9], s[2:3]
	;; [unrolled: 1-line block ×4, first 2 shown]
	v_mov_b32_e32 v9, s1
	v_add_co_u32_e32 v8, vcc, s0, v12
	v_addc_co_u32_e32 v9, vcc, v13, v9, vcc
	global_store_dwordx4 v[8:9], v[0:3], off
	s_nop 0
	v_mov_b32_e32 v1, s1
	v_add_co_u32_e32 v0, vcc, s0, v8
	v_addc_co_u32_e32 v1, vcc, v9, v1, vcc
	global_store_dwordx4 v[0:1], v[4:7], off
.LBB0_2:
	s_endpgm
	.section	.rodata,"a",@progbits
	.p2align	6, 0x0
	.amdhsa_kernel bluestein_single_fwd_len1331_dim1_dp_op_CI_CI
		.amdhsa_group_segment_fixed_size 42592
		.amdhsa_private_segment_fixed_size 0
		.amdhsa_kernarg_size 104
		.amdhsa_user_sgpr_count 6
		.amdhsa_user_sgpr_private_segment_buffer 1
		.amdhsa_user_sgpr_dispatch_ptr 0
		.amdhsa_user_sgpr_queue_ptr 0
		.amdhsa_user_sgpr_kernarg_segment_ptr 1
		.amdhsa_user_sgpr_dispatch_id 0
		.amdhsa_user_sgpr_flat_scratch_init 0
		.amdhsa_user_sgpr_private_segment_size 0
		.amdhsa_uses_dynamic_stack 0
		.amdhsa_system_sgpr_private_segment_wavefront_offset 0
		.amdhsa_system_sgpr_workgroup_id_x 1
		.amdhsa_system_sgpr_workgroup_id_y 0
		.amdhsa_system_sgpr_workgroup_id_z 0
		.amdhsa_system_sgpr_workgroup_info 0
		.amdhsa_system_vgpr_workitem_id 0
		.amdhsa_next_free_vgpr 223
		.amdhsa_next_free_sgpr 38
		.amdhsa_reserve_vcc 1
		.amdhsa_reserve_flat_scratch 0
		.amdhsa_float_round_mode_32 0
		.amdhsa_float_round_mode_16_64 0
		.amdhsa_float_denorm_mode_32 3
		.amdhsa_float_denorm_mode_16_64 3
		.amdhsa_dx10_clamp 1
		.amdhsa_ieee_mode 1
		.amdhsa_fp16_overflow 0
		.amdhsa_exception_fp_ieee_invalid_op 0
		.amdhsa_exception_fp_denorm_src 0
		.amdhsa_exception_fp_ieee_div_zero 0
		.amdhsa_exception_fp_ieee_overflow 0
		.amdhsa_exception_fp_ieee_underflow 0
		.amdhsa_exception_fp_ieee_inexact 0
		.amdhsa_exception_int_div_zero 0
	.end_amdhsa_kernel
	.text
.Lfunc_end0:
	.size	bluestein_single_fwd_len1331_dim1_dp_op_CI_CI, .Lfunc_end0-bluestein_single_fwd_len1331_dim1_dp_op_CI_CI
                                        ; -- End function
	.section	.AMDGPU.csdata,"",@progbits
; Kernel info:
; codeLenInByte = 19920
; NumSgprs: 42
; NumVgprs: 223
; ScratchSize: 0
; MemoryBound: 0
; FloatMode: 240
; IeeeMode: 1
; LDSByteSize: 42592 bytes/workgroup (compile time only)
; SGPRBlocks: 5
; VGPRBlocks: 55
; NumSGPRsForWavesPerEU: 42
; NumVGPRsForWavesPerEU: 223
; Occupancy: 1
; WaveLimiterHint : 1
; COMPUTE_PGM_RSRC2:SCRATCH_EN: 0
; COMPUTE_PGM_RSRC2:USER_SGPR: 6
; COMPUTE_PGM_RSRC2:TRAP_HANDLER: 0
; COMPUTE_PGM_RSRC2:TGID_X_EN: 1
; COMPUTE_PGM_RSRC2:TGID_Y_EN: 0
; COMPUTE_PGM_RSRC2:TGID_Z_EN: 0
; COMPUTE_PGM_RSRC2:TIDIG_COMP_CNT: 0
	.type	__hip_cuid_d09360480589f84f,@object ; @__hip_cuid_d09360480589f84f
	.section	.bss,"aw",@nobits
	.globl	__hip_cuid_d09360480589f84f
__hip_cuid_d09360480589f84f:
	.byte	0                               ; 0x0
	.size	__hip_cuid_d09360480589f84f, 1

	.ident	"AMD clang version 19.0.0git (https://github.com/RadeonOpenCompute/llvm-project roc-6.4.0 25133 c7fe45cf4b819c5991fe208aaa96edf142730f1d)"
	.section	".note.GNU-stack","",@progbits
	.addrsig
	.addrsig_sym __hip_cuid_d09360480589f84f
	.amdgpu_metadata
---
amdhsa.kernels:
  - .args:
      - .actual_access:  read_only
        .address_space:  global
        .offset:         0
        .size:           8
        .value_kind:     global_buffer
      - .actual_access:  read_only
        .address_space:  global
        .offset:         8
        .size:           8
        .value_kind:     global_buffer
      - .actual_access:  read_only
        .address_space:  global
        .offset:         16
        .size:           8
        .value_kind:     global_buffer
      - .actual_access:  read_only
        .address_space:  global
        .offset:         24
        .size:           8
        .value_kind:     global_buffer
      - .actual_access:  read_only
        .address_space:  global
        .offset:         32
        .size:           8
        .value_kind:     global_buffer
      - .offset:         40
        .size:           8
        .value_kind:     by_value
      - .address_space:  global
        .offset:         48
        .size:           8
        .value_kind:     global_buffer
      - .address_space:  global
        .offset:         56
        .size:           8
        .value_kind:     global_buffer
      - .address_space:  global
        .offset:         64
        .size:           8
        .value_kind:     global_buffer
      - .address_space:  global
        .offset:         72
        .size:           8
        .value_kind:     global_buffer
      - .offset:         80
        .size:           4
        .value_kind:     by_value
      - .address_space:  global
        .offset:         88
        .size:           8
        .value_kind:     global_buffer
      - .address_space:  global
        .offset:         96
        .size:           8
        .value_kind:     global_buffer
    .group_segment_fixed_size: 42592
    .kernarg_segment_align: 8
    .kernarg_segment_size: 104
    .language:       OpenCL C
    .language_version:
      - 2
      - 0
    .max_flat_workgroup_size: 242
    .name:           bluestein_single_fwd_len1331_dim1_dp_op_CI_CI
    .private_segment_fixed_size: 0
    .sgpr_count:     42
    .sgpr_spill_count: 0
    .symbol:         bluestein_single_fwd_len1331_dim1_dp_op_CI_CI.kd
    .uniform_work_group_size: 1
    .uses_dynamic_stack: false
    .vgpr_count:     223
    .vgpr_spill_count: 0
    .wavefront_size: 64
amdhsa.target:   amdgcn-amd-amdhsa--gfx906
amdhsa.version:
  - 1
  - 2
...

	.end_amdgpu_metadata
